;; amdgpu-corpus repo=ROCm/rocFFT kind=compiled arch=gfx1201 opt=O3
	.text
	.amdgcn_target "amdgcn-amd-amdhsa--gfx1201"
	.amdhsa_code_object_version 6
	.protected	fft_rtc_back_len1260_factors_2_2_3_3_5_7_wgs_63_tpt_63_halfLds_dp_op_CI_CI_unitstride_sbrr_dirReg ; -- Begin function fft_rtc_back_len1260_factors_2_2_3_3_5_7_wgs_63_tpt_63_halfLds_dp_op_CI_CI_unitstride_sbrr_dirReg
	.globl	fft_rtc_back_len1260_factors_2_2_3_3_5_7_wgs_63_tpt_63_halfLds_dp_op_CI_CI_unitstride_sbrr_dirReg
	.p2align	8
	.type	fft_rtc_back_len1260_factors_2_2_3_3_5_7_wgs_63_tpt_63_halfLds_dp_op_CI_CI_unitstride_sbrr_dirReg,@function
fft_rtc_back_len1260_factors_2_2_3_3_5_7_wgs_63_tpt_63_halfLds_dp_op_CI_CI_unitstride_sbrr_dirReg: ; @fft_rtc_back_len1260_factors_2_2_3_3_5_7_wgs_63_tpt_63_halfLds_dp_op_CI_CI_unitstride_sbrr_dirReg
; %bb.0:
	s_clause 0x2
	s_load_b128 s[4:7], s[0:1], 0x0
	s_load_b128 s[8:11], s[0:1], 0x58
	;; [unrolled: 1-line block ×3, first 2 shown]
	v_mul_u32_u24_e32 v1, 0x411, v0
	v_mov_b32_e32 v4, 0
	v_mov_b32_e32 v5, 0
	s_delay_alu instid0(VALU_DEP_3) | instskip(NEXT) | instid1(VALU_DEP_1)
	v_lshrrev_b32_e32 v2, 16, v1
	v_dual_mov_b32 v1, 0 :: v_dual_add_nc_u32 v6, ttmp9, v2
	s_delay_alu instid0(VALU_DEP_1) | instskip(SKIP_2) | instid1(VALU_DEP_1)
	v_mov_b32_e32 v7, v1
	s_wait_kmcnt 0x0
	v_cmp_lt_u64_e64 s2, s[6:7], 2
	s_and_b32 vcc_lo, exec_lo, s2
	s_cbranch_vccnz .LBB0_8
; %bb.1:
	s_load_b64 s[2:3], s[0:1], 0x10
	v_mov_b32_e32 v4, 0
	v_mov_b32_e32 v5, 0
	s_add_nc_u64 s[16:17], s[14:15], 8
	s_add_nc_u64 s[18:19], s[12:13], 8
	s_mov_b64 s[20:21], 1
	s_delay_alu instid0(VALU_DEP_1)
	v_dual_mov_b32 v117, v5 :: v_dual_mov_b32 v116, v4
	s_wait_kmcnt 0x0
	s_add_nc_u64 s[22:23], s[2:3], 8
	s_mov_b32 s3, 0
.LBB0_2:                                ; =>This Inner Loop Header: Depth=1
	s_load_b64 s[24:25], s[22:23], 0x0
                                        ; implicit-def: $vgpr118_vgpr119
	s_mov_b32 s2, exec_lo
	s_wait_kmcnt 0x0
	v_or_b32_e32 v2, s25, v7
	s_delay_alu instid0(VALU_DEP_1)
	v_cmpx_ne_u64_e32 0, v[1:2]
	s_wait_alu 0xfffe
	s_xor_b32 s26, exec_lo, s2
	s_cbranch_execz .LBB0_4
; %bb.3:                                ;   in Loop: Header=BB0_2 Depth=1
	s_cvt_f32_u32 s2, s24
	s_cvt_f32_u32 s27, s25
	s_sub_nc_u64 s[30:31], 0, s[24:25]
	s_wait_alu 0xfffe
	s_delay_alu instid0(SALU_CYCLE_1) | instskip(SKIP_1) | instid1(SALU_CYCLE_2)
	s_fmamk_f32 s2, s27, 0x4f800000, s2
	s_wait_alu 0xfffe
	v_s_rcp_f32 s2, s2
	s_delay_alu instid0(TRANS32_DEP_1) | instskip(SKIP_1) | instid1(SALU_CYCLE_2)
	s_mul_f32 s2, s2, 0x5f7ffffc
	s_wait_alu 0xfffe
	s_mul_f32 s27, s2, 0x2f800000
	s_wait_alu 0xfffe
	s_delay_alu instid0(SALU_CYCLE_2) | instskip(SKIP_1) | instid1(SALU_CYCLE_2)
	s_trunc_f32 s27, s27
	s_wait_alu 0xfffe
	s_fmamk_f32 s2, s27, 0xcf800000, s2
	s_cvt_u32_f32 s29, s27
	s_wait_alu 0xfffe
	s_delay_alu instid0(SALU_CYCLE_1) | instskip(SKIP_1) | instid1(SALU_CYCLE_2)
	s_cvt_u32_f32 s28, s2
	s_wait_alu 0xfffe
	s_mul_u64 s[34:35], s[30:31], s[28:29]
	s_wait_alu 0xfffe
	s_mul_hi_u32 s37, s28, s35
	s_mul_i32 s36, s28, s35
	s_mul_hi_u32 s2, s28, s34
	s_mul_i32 s33, s29, s34
	s_wait_alu 0xfffe
	s_add_nc_u64 s[36:37], s[2:3], s[36:37]
	s_mul_hi_u32 s27, s29, s34
	s_mul_hi_u32 s38, s29, s35
	s_add_co_u32 s2, s36, s33
	s_wait_alu 0xfffe
	s_add_co_ci_u32 s2, s37, s27
	s_mul_i32 s34, s29, s35
	s_add_co_ci_u32 s35, s38, 0
	s_wait_alu 0xfffe
	s_add_nc_u64 s[34:35], s[2:3], s[34:35]
	s_wait_alu 0xfffe
	v_add_co_u32 v2, s2, s28, s34
	s_delay_alu instid0(VALU_DEP_1) | instskip(SKIP_1) | instid1(VALU_DEP_1)
	s_cmp_lg_u32 s2, 0
	s_add_co_ci_u32 s29, s29, s35
	v_readfirstlane_b32 s28, v2
	s_wait_alu 0xfffe
	s_delay_alu instid0(VALU_DEP_1)
	s_mul_u64 s[30:31], s[30:31], s[28:29]
	s_wait_alu 0xfffe
	s_mul_hi_u32 s35, s28, s31
	s_mul_i32 s34, s28, s31
	s_mul_hi_u32 s2, s28, s30
	s_mul_i32 s33, s29, s30
	s_wait_alu 0xfffe
	s_add_nc_u64 s[34:35], s[2:3], s[34:35]
	s_mul_hi_u32 s27, s29, s30
	s_mul_hi_u32 s28, s29, s31
	s_wait_alu 0xfffe
	s_add_co_u32 s2, s34, s33
	s_add_co_ci_u32 s2, s35, s27
	s_mul_i32 s30, s29, s31
	s_add_co_ci_u32 s31, s28, 0
	s_wait_alu 0xfffe
	s_add_nc_u64 s[30:31], s[2:3], s[30:31]
	s_wait_alu 0xfffe
	v_add_co_u32 v8, s2, v2, s30
	s_delay_alu instid0(VALU_DEP_1) | instskip(SKIP_1) | instid1(VALU_DEP_1)
	s_cmp_lg_u32 s2, 0
	s_add_co_ci_u32 s2, s29, s31
	v_mul_hi_u32 v12, v6, v8
	s_wait_alu 0xfffe
	v_mad_co_u64_u32 v[2:3], null, v6, s2, 0
	v_mad_co_u64_u32 v[8:9], null, v7, v8, 0
	;; [unrolled: 1-line block ×3, first 2 shown]
	s_delay_alu instid0(VALU_DEP_3) | instskip(SKIP_1) | instid1(VALU_DEP_4)
	v_add_co_u32 v2, vcc_lo, v12, v2
	s_wait_alu 0xfffd
	v_add_co_ci_u32_e32 v3, vcc_lo, 0, v3, vcc_lo
	s_delay_alu instid0(VALU_DEP_2) | instskip(SKIP_1) | instid1(VALU_DEP_2)
	v_add_co_u32 v2, vcc_lo, v2, v8
	s_wait_alu 0xfffd
	v_add_co_ci_u32_e32 v2, vcc_lo, v3, v9, vcc_lo
	s_wait_alu 0xfffd
	v_add_co_ci_u32_e32 v3, vcc_lo, 0, v11, vcc_lo
	s_delay_alu instid0(VALU_DEP_2) | instskip(SKIP_1) | instid1(VALU_DEP_2)
	v_add_co_u32 v8, vcc_lo, v2, v10
	s_wait_alu 0xfffd
	v_add_co_ci_u32_e32 v9, vcc_lo, 0, v3, vcc_lo
	s_delay_alu instid0(VALU_DEP_2) | instskip(SKIP_1) | instid1(VALU_DEP_3)
	v_mul_lo_u32 v10, s25, v8
	v_mad_co_u64_u32 v[2:3], null, s24, v8, 0
	v_mul_lo_u32 v11, s24, v9
	s_delay_alu instid0(VALU_DEP_2) | instskip(NEXT) | instid1(VALU_DEP_2)
	v_sub_co_u32 v2, vcc_lo, v6, v2
	v_add3_u32 v3, v3, v11, v10
	s_delay_alu instid0(VALU_DEP_1) | instskip(SKIP_1) | instid1(VALU_DEP_1)
	v_sub_nc_u32_e32 v10, v7, v3
	s_wait_alu 0xfffd
	v_subrev_co_ci_u32_e64 v10, s2, s25, v10, vcc_lo
	v_add_co_u32 v11, s2, v8, 2
	s_wait_alu 0xf1ff
	v_add_co_ci_u32_e64 v12, s2, 0, v9, s2
	v_sub_co_u32 v13, s2, v2, s24
	v_sub_co_ci_u32_e32 v3, vcc_lo, v7, v3, vcc_lo
	s_wait_alu 0xf1ff
	v_subrev_co_ci_u32_e64 v10, s2, 0, v10, s2
	s_delay_alu instid0(VALU_DEP_3) | instskip(NEXT) | instid1(VALU_DEP_3)
	v_cmp_le_u32_e32 vcc_lo, s24, v13
	v_cmp_eq_u32_e64 s2, s25, v3
	s_wait_alu 0xfffd
	v_cndmask_b32_e64 v13, 0, -1, vcc_lo
	v_cmp_le_u32_e32 vcc_lo, s25, v10
	s_wait_alu 0xfffd
	v_cndmask_b32_e64 v14, 0, -1, vcc_lo
	v_cmp_le_u32_e32 vcc_lo, s24, v2
	;; [unrolled: 3-line block ×3, first 2 shown]
	s_wait_alu 0xfffd
	v_cndmask_b32_e64 v15, 0, -1, vcc_lo
	v_cmp_eq_u32_e32 vcc_lo, s25, v10
	s_wait_alu 0xf1ff
	s_delay_alu instid0(VALU_DEP_2)
	v_cndmask_b32_e64 v2, v15, v2, s2
	s_wait_alu 0xfffd
	v_cndmask_b32_e32 v10, v14, v13, vcc_lo
	v_add_co_u32 v13, vcc_lo, v8, 1
	s_wait_alu 0xfffd
	v_add_co_ci_u32_e32 v14, vcc_lo, 0, v9, vcc_lo
	s_delay_alu instid0(VALU_DEP_3) | instskip(SKIP_1) | instid1(VALU_DEP_2)
	v_cmp_ne_u32_e32 vcc_lo, 0, v10
	s_wait_alu 0xfffd
	v_dual_cndmask_b32 v3, v14, v12 :: v_dual_cndmask_b32 v10, v13, v11
	v_cmp_ne_u32_e32 vcc_lo, 0, v2
	s_wait_alu 0xfffd
	s_delay_alu instid0(VALU_DEP_2)
	v_dual_cndmask_b32 v119, v9, v3 :: v_dual_cndmask_b32 v118, v8, v10
.LBB0_4:                                ;   in Loop: Header=BB0_2 Depth=1
	s_wait_alu 0xfffe
	s_and_not1_saveexec_b32 s2, s26
	s_cbranch_execz .LBB0_6
; %bb.5:                                ;   in Loop: Header=BB0_2 Depth=1
	v_cvt_f32_u32_e32 v2, s24
	s_sub_co_i32 s26, 0, s24
	v_mov_b32_e32 v119, v1
	s_delay_alu instid0(VALU_DEP_2) | instskip(NEXT) | instid1(TRANS32_DEP_1)
	v_rcp_iflag_f32_e32 v2, v2
	v_mul_f32_e32 v2, 0x4f7ffffe, v2
	s_delay_alu instid0(VALU_DEP_1) | instskip(SKIP_1) | instid1(VALU_DEP_1)
	v_cvt_u32_f32_e32 v2, v2
	s_wait_alu 0xfffe
	v_mul_lo_u32 v3, s26, v2
	s_delay_alu instid0(VALU_DEP_1) | instskip(NEXT) | instid1(VALU_DEP_1)
	v_mul_hi_u32 v3, v2, v3
	v_add_nc_u32_e32 v2, v2, v3
	s_delay_alu instid0(VALU_DEP_1) | instskip(NEXT) | instid1(VALU_DEP_1)
	v_mul_hi_u32 v2, v6, v2
	v_mul_lo_u32 v3, v2, s24
	v_add_nc_u32_e32 v8, 1, v2
	s_delay_alu instid0(VALU_DEP_2) | instskip(NEXT) | instid1(VALU_DEP_1)
	v_sub_nc_u32_e32 v3, v6, v3
	v_subrev_nc_u32_e32 v9, s24, v3
	v_cmp_le_u32_e32 vcc_lo, s24, v3
	s_wait_alu 0xfffd
	s_delay_alu instid0(VALU_DEP_2) | instskip(NEXT) | instid1(VALU_DEP_1)
	v_dual_cndmask_b32 v3, v3, v9 :: v_dual_cndmask_b32 v2, v2, v8
	v_cmp_le_u32_e32 vcc_lo, s24, v3
	s_delay_alu instid0(VALU_DEP_2) | instskip(SKIP_1) | instid1(VALU_DEP_1)
	v_add_nc_u32_e32 v8, 1, v2
	s_wait_alu 0xfffd
	v_cndmask_b32_e32 v118, v2, v8, vcc_lo
.LBB0_6:                                ;   in Loop: Header=BB0_2 Depth=1
	s_wait_alu 0xfffe
	s_or_b32 exec_lo, exec_lo, s2
	v_mul_lo_u32 v8, v119, s24
	s_delay_alu instid0(VALU_DEP_2)
	v_mul_lo_u32 v9, v118, s25
	s_load_b64 s[26:27], s[18:19], 0x0
	v_mad_co_u64_u32 v[2:3], null, v118, s24, 0
	s_load_b64 s[24:25], s[16:17], 0x0
	s_add_nc_u64 s[20:21], s[20:21], 1
	s_add_nc_u64 s[16:17], s[16:17], 8
	s_wait_alu 0xfffe
	v_cmp_ge_u64_e64 s2, s[20:21], s[6:7]
	s_add_nc_u64 s[18:19], s[18:19], 8
	s_add_nc_u64 s[22:23], s[22:23], 8
	v_add3_u32 v3, v3, v9, v8
	v_sub_co_u32 v2, vcc_lo, v6, v2
	s_wait_alu 0xfffd
	s_delay_alu instid0(VALU_DEP_2) | instskip(SKIP_2) | instid1(VALU_DEP_1)
	v_sub_co_ci_u32_e32 v3, vcc_lo, v7, v3, vcc_lo
	s_and_b32 vcc_lo, exec_lo, s2
	s_wait_kmcnt 0x0
	v_mul_lo_u32 v6, s26, v3
	v_mul_lo_u32 v7, s27, v2
	v_mad_co_u64_u32 v[4:5], null, s26, v2, v[4:5]
	v_mul_lo_u32 v3, s24, v3
	v_mul_lo_u32 v8, s25, v2
	v_mad_co_u64_u32 v[116:117], null, s24, v2, v[116:117]
	s_delay_alu instid0(VALU_DEP_4) | instskip(NEXT) | instid1(VALU_DEP_2)
	v_add3_u32 v5, v7, v5, v6
	v_add3_u32 v117, v8, v117, v3
	s_wait_alu 0xfffe
	s_cbranch_vccnz .LBB0_9
; %bb.7:                                ;   in Loop: Header=BB0_2 Depth=1
	v_dual_mov_b32 v6, v118 :: v_dual_mov_b32 v7, v119
	s_branch .LBB0_2
.LBB0_8:
	v_dual_mov_b32 v117, v5 :: v_dual_mov_b32 v116, v4
	v_dual_mov_b32 v119, v7 :: v_dual_mov_b32 v118, v6
.LBB0_9:
	s_load_b64 s[0:1], s[0:1], 0x28
	v_mul_hi_u32 v1, 0x4104105, v0
	s_lshl_b64 s[6:7], s[6:7], 3
                                        ; implicit-def: $vgpr130
	s_wait_kmcnt 0x0
	v_cmp_gt_u64_e32 vcc_lo, s[0:1], v[118:119]
	v_cmp_le_u64_e64 s0, s[0:1], v[118:119]
	s_delay_alu instid0(VALU_DEP_1)
	s_and_saveexec_b32 s1, s0
	s_wait_alu 0xfffe
	s_xor_b32 s0, exec_lo, s1
; %bb.10:
	v_mul_u32_u24_e32 v1, 63, v1
                                        ; implicit-def: $vgpr4_vgpr5
	s_delay_alu instid0(VALU_DEP_1)
	v_sub_nc_u32_e32 v130, v0, v1
                                        ; implicit-def: $vgpr1
                                        ; implicit-def: $vgpr0
; %bb.11:
	s_wait_alu 0xfffe
	s_or_saveexec_b32 s1, s0
	s_add_nc_u64 s[2:3], s[14:15], s[6:7]
                                        ; implicit-def: $vgpr78_vgpr79
                                        ; implicit-def: $vgpr62_vgpr63
                                        ; implicit-def: $vgpr74_vgpr75
                                        ; implicit-def: $vgpr58_vgpr59
                                        ; implicit-def: $vgpr70_vgpr71
                                        ; implicit-def: $vgpr38_vgpr39
                                        ; implicit-def: $vgpr66_vgpr67
                                        ; implicit-def: $vgpr30_vgpr31
                                        ; implicit-def: $vgpr50_vgpr51
                                        ; implicit-def: $vgpr22_vgpr23
                                        ; implicit-def: $vgpr42_vgpr43
                                        ; implicit-def: $vgpr18_vgpr19
                                        ; implicit-def: $vgpr34_vgpr35
                                        ; implicit-def: $vgpr14_vgpr15
                                        ; implicit-def: $vgpr26_vgpr27
                                        ; implicit-def: $vgpr10_vgpr11
                                        ; implicit-def: $vgpr54_vgpr55
                                        ; implicit-def: $vgpr6_vgpr7
                                        ; implicit-def: $vgpr46_vgpr47
                                        ; implicit-def: $vgpr2_vgpr3
	s_wait_alu 0xfffe
	s_xor_b32 exec_lo, exec_lo, s1
	s_cbranch_execz .LBB0_13
; %bb.12:
	s_add_nc_u64 s[6:7], s[12:13], s[6:7]
	s_load_b64 s[6:7], s[6:7], 0x0
	s_wait_kmcnt 0x0
	v_mul_lo_u32 v6, s7, v118
	v_mul_lo_u32 v7, s6, v119
	v_mad_co_u64_u32 v[2:3], null, s6, v118, 0
	s_delay_alu instid0(VALU_DEP_1) | instskip(SKIP_1) | instid1(VALU_DEP_2)
	v_add3_u32 v3, v3, v7, v6
	v_mul_u32_u24_e32 v6, 63, v1
	v_lshlrev_b64_e32 v[1:2], 4, v[2:3]
	v_lshlrev_b64_e32 v[3:4], 4, v[4:5]
	s_delay_alu instid0(VALU_DEP_3) | instskip(NEXT) | instid1(VALU_DEP_3)
	v_sub_nc_u32_e32 v130, v0, v6
	v_add_co_u32 v0, s0, s8, v1
	s_wait_alu 0xf1ff
	s_delay_alu instid0(VALU_DEP_4) | instskip(NEXT) | instid1(VALU_DEP_3)
	v_add_co_ci_u32_e64 v1, s0, s9, v2, s0
	v_lshlrev_b32_e32 v2, 4, v130
	s_delay_alu instid0(VALU_DEP_3) | instskip(SKIP_1) | instid1(VALU_DEP_3)
	v_add_co_u32 v0, s0, v0, v3
	s_wait_alu 0xf1ff
	v_add_co_ci_u32_e64 v1, s0, v1, v4, s0
	s_delay_alu instid0(VALU_DEP_2) | instskip(SKIP_1) | instid1(VALU_DEP_2)
	v_add_co_u32 v76, s0, v0, v2
	s_wait_alu 0xf1ff
	v_add_co_ci_u32_e64 v77, s0, 0, v1, s0
	s_clause 0x13
	global_load_b128 v[0:3], v[76:77], off
	global_load_b128 v[4:7], v[76:77], off offset:1008
	global_load_b128 v[44:47], v[76:77], off offset:10080
	;; [unrolled: 1-line block ×19, first 2 shown]
.LBB0_13:
	s_or_b32 exec_lo, exec_lo, s1
	s_wait_loadcnt 0x11
	v_add_f64_e64 v[44:45], v[0:1], -v[44:45]
	v_add_f64_e64 v[96:97], v[2:3], -v[46:47]
	s_wait_loadcnt 0x10
	v_add_f64_e64 v[52:53], v[4:5], -v[52:53]
	v_add_f64_e64 v[100:101], v[6:7], -v[54:55]
	;; [unrolled: 3-line block ×6, first 2 shown]
	s_wait_loadcnt 0x5
	v_add_f64_e64 v[92:93], v[28:29], -v[64:65]
	s_wait_loadcnt 0x4
	v_add_f64_e64 v[68:69], v[36:37], -v[68:69]
	;; [unrolled: 2-line block ×4, first 2 shown]
	v_add_f64_e64 v[122:123], v[30:31], -v[66:67]
	v_add_f64_e64 v[40:41], v[38:39], -v[70:71]
	;; [unrolled: 1-line block ×4, first 2 shown]
	v_add_nc_u32_e32 v132, 63, v130
	v_lshl_add_u32 v133, v130, 3, 0
	v_add_nc_u32_e32 v131, 0x7e, v130
	v_add_nc_u32_e32 v134, 0xbd, v130
	;; [unrolled: 1-line block ×3, first 2 shown]
	v_lshl_add_u32 v54, v130, 4, 0
	v_add_nc_u32_e32 v137, 0x13b, v130
	v_add_nc_u32_e32 v136, 0x17a, v130
	;; [unrolled: 1-line block ×6, first 2 shown]
	v_lshl_add_u32 v55, v134, 4, 0
	v_add_nc_u32_e32 v145, 0x1400, v133
	v_add_nc_u32_e32 v139, 0x400, v133
	s_load_b64 s[2:3], s[2:3], 0x0
	v_lshl_add_u32 v128, v115, 4, 0
	v_lshl_add_u32 v129, v144, 4, 0
	v_fma_f64 v[42:43], v[0:1], 2.0, -v[44:45]
	v_fma_f64 v[94:95], v[2:3], 2.0, -v[96:97]
	;; [unrolled: 1-line block ×20, first 2 shown]
	v_lshl_add_u32 v36, v132, 4, 0
	v_lshl_add_u32 v37, v131, 4, 0
	;; [unrolled: 1-line block ×6, first 2 shown]
	v_add_nc_u32_e32 v142, 0x1800, v133
	v_add_nc_u32_e32 v143, 0x800, v133
	;; [unrolled: 1-line block ×5, first 2 shown]
	v_cmp_gt_u32_e64 s0, 42, v130
	ds_store_b128 v54, v[42:45]
	ds_store_b128 v36, v[50:53]
	;; [unrolled: 1-line block ×10, first 2 shown]
	global_wb scope:SCOPE_SE
	s_wait_dscnt 0x0
	s_wait_kmcnt 0x0
	s_barrier_signal -1
	s_barrier_wait -1
	global_inv scope:SCOPE_SE
	ds_load_2addr_b64 v[4:7], v133 offset1:63
	ds_load_2addr_b64 v[28:31], v138 offset0:118 offset1:181
	ds_load_2addr_b64 v[12:15], v133 offset0:126 offset1:189
	;; [unrolled: 1-line block ×9, first 2 shown]
	global_wb scope:SCOPE_SE
	s_wait_dscnt 0x0
	s_barrier_signal -1
	s_barrier_wait -1
	global_inv scope:SCOPE_SE
	ds_store_b128 v54, v[94:97]
	ds_store_b128 v36, v[98:101]
	;; [unrolled: 1-line block ×6, first 2 shown]
	v_and_b32_e32 v100, 1, v130
	v_and_b32_e32 v101, 1, v144
	;; [unrolled: 1-line block ×5, first 2 shown]
	v_lshlrev_b32_e32 v32, 4, v100
	v_lshlrev_b32_e32 v33, 4, v101
	ds_store_b128 v60, v[120:123]
	ds_store_b128 v61, v[38:41]
	;; [unrolled: 1-line block ×4, first 2 shown]
	global_wb scope:SCOPE_SE
	s_wait_dscnt 0x0
	s_barrier_signal -1
	s_barrier_wait -1
	global_inv scope:SCOPE_SE
	s_clause 0x1
	global_load_b128 v[56:59], v32, s[4:5]
	global_load_b128 v[60:63], v33, s[4:5]
	v_lshlrev_b32_e32 v34, 4, v102
	v_lshlrev_b32_e32 v32, 4, v103
	;; [unrolled: 1-line block ×3, first 2 shown]
	s_clause 0x3
	global_load_b128 v[72:75], v34, s[4:5]
	global_load_b128 v[68:71], v32, s[4:5]
	;; [unrolled: 1-line block ×3, first 2 shown]
	global_load_b64 v[126:127], v33, s[4:5] offset:8
	v_and_b32_e32 v105, 1, v132
	v_lshlrev_b32_e32 v106, 1, v135
	v_lshlrev_b32_e32 v107, 1, v137
	;; [unrolled: 1-line block ×7, first 2 shown]
	global_load_b64 v[128:129], v32, s[4:5]
	ds_load_2addr_b64 v[80:83], v138 offset0:118 offset1:181
	ds_load_2addr_b64 v[76:79], v145 offset0:116 offset1:179
	;; [unrolled: 1-line block ×5, first 2 shown]
	v_and_or_b32 v101, 0x4fc, v111, v101
	s_delay_alu instid0(VALU_DEP_1)
	v_lshl_add_u32 v153, v101, 3, 0
	s_wait_loadcnt_dscnt 0x604
	v_mul_f64_e32 v[32:33], v[80:81], v[58:59]
	s_wait_loadcnt 0x5
	v_mul_f64_e32 v[34:35], v[82:83], v[62:63]
	s_wait_dscnt 0x3
	v_mul_f64_e32 v[36:37], v[76:77], v[58:59]
	s_wait_dscnt 0x2
	v_mul_f64_e32 v[40:41], v[88:89], v[58:59]
	s_wait_loadcnt 0x4
	v_mul_f64_e32 v[38:39], v[78:79], v[74:75]
	s_wait_loadcnt 0x3
	v_mul_f64_e32 v[50:51], v[90:91], v[70:71]
	s_wait_dscnt 0x1
	v_mul_f64_e32 v[52:53], v[92:93], v[58:59]
	s_wait_loadcnt 0x2
	v_mul_f64_e32 v[54:55], v[94:95], v[66:67]
	s_wait_dscnt 0x0
	v_mul_f64_e32 v[96:97], v[84:85], v[58:59]
	s_wait_loadcnt 0x1
	v_mul_f64_e32 v[98:99], v[86:87], v[126:127]
	v_fma_f64 v[32:33], v[28:29], v[56:57], v[32:33]
	s_wait_loadcnt 0x0
	v_fma_f64 v[34:35], v[30:31], v[128:129], v[34:35]
	v_fma_f64 v[36:37], v[24:25], v[56:57], v[36:37]
	;; [unrolled: 1-line block ×9, first 2 shown]
	v_add_f64_e64 v[32:33], v[4:5], -v[32:33]
	v_add_f64_e64 v[34:35], v[6:7], -v[34:35]
	;; [unrolled: 1-line block ×10, first 2 shown]
	v_lshlrev_b32_e32 v96, 1, v130
	v_lshlrev_b32_e32 v97, 1, v132
	;; [unrolled: 1-line block ×4, first 2 shown]
	s_delay_alu instid0(VALU_DEP_4) | instskip(NEXT) | instid1(VALU_DEP_1)
	v_and_or_b32 v96, 0x7c, v96, v100
	v_lshl_add_u32 v144, v96, 3, 0
	s_delay_alu instid0(VALU_DEP_3) | instskip(SKIP_2) | instid1(VALU_DEP_3)
	v_and_or_b32 v96, 0x1fc, v99, v102
	v_and_or_b32 v99, 0x3fc, v108, v100
	;; [unrolled: 1-line block ×3, first 2 shown]
	v_lshl_add_u32 v147, v96, 3, 0
	s_delay_alu instid0(VALU_DEP_3) | instskip(NEXT) | instid1(VALU_DEP_3)
	v_lshl_add_u32 v150, v99, 3, 0
	v_lshl_add_u32 v151, v102, 3, 0
	v_fma_f64 v[4:5], v[4:5], 2.0, -v[32:33]
	v_fma_f64 v[6:7], v[6:7], 2.0, -v[34:35]
	;; [unrolled: 1-line block ×10, first 2 shown]
	v_and_or_b32 v48, 0xfc, v97, v105
	v_and_or_b32 v49, 0x1fc, v98, v100
	;; [unrolled: 1-line block ×5, first 2 shown]
	v_lshl_add_u32 v145, v48, 3, 0
	v_lshl_add_u32 v146, v49, 3, 0
	;; [unrolled: 1-line block ×5, first 2 shown]
	ds_load_2addr_b64 v[96:99], v154 offset0:120 offset1:183
	ds_load_2addr_b64 v[112:115], v133 offset1:63
	ds_load_2addr_b64 v[108:111], v133 offset0:126 offset1:189
	ds_load_2addr_b64 v[104:107], v139 offset0:124 offset1:187
	;; [unrolled: 1-line block ×3, first 2 shown]
	global_wb scope:SCOPE_SE
	s_wait_dscnt 0x0
	s_barrier_signal -1
	s_barrier_wait -1
	global_inv scope:SCOPE_SE
	ds_store_2addr_b64 v144, v[4:5], v[32:33] offset1:2
	ds_store_2addr_b64 v145, v[6:7], v[34:35] offset1:2
	;; [unrolled: 1-line block ×10, first 2 shown]
	global_wb scope:SCOPE_SE
	s_wait_dscnt 0x0
	s_barrier_signal -1
	s_barrier_wait -1
	global_inv scope:SCOPE_SE
	ds_load_2addr_b64 v[20:23], v133 offset1:63
	ds_load_2addr_b64 v[48:51], v143 offset0:164 offset1:227
	ds_load_2addr_b64 v[52:55], v142 offset0:72 offset1:135
	;; [unrolled: 1-line block ×8, first 2 shown]
                                        ; implicit-def: $vgpr124_vgpr125
	s_and_saveexec_b32 s1, s0
	s_cbranch_execz .LBB0_15
; %bb.14:
	ds_load_b64 v[120:121], v133 offset:3024
	ds_load_b64 v[122:123], v133 offset:6384
	;; [unrolled: 1-line block ×3, first 2 shown]
.LBB0_15:
	s_wait_alu 0xfffe
	s_or_b32 exec_lo, exec_lo, s1
	v_mul_f64_e32 v[28:29], v[28:29], v[58:59]
	v_mul_f64_e32 v[30:31], v[30:31], v[62:63]
	;; [unrolled: 1-line block ×10, first 2 shown]
	global_wb scope:SCOPE_SE
	s_wait_dscnt 0x0
	s_barrier_signal -1
	s_barrier_wait -1
	global_inv scope:SCOPE_SE
	v_fma_f64 v[28:29], v[80:81], v[56:57], -v[28:29]
	v_fma_f64 v[30:31], v[82:83], v[128:129], -v[30:31]
	;; [unrolled: 1-line block ×10, first 2 shown]
                                        ; implicit-def: $vgpr76_vgpr77
	v_add_f64_e64 v[28:29], v[112:113], -v[28:29]
	v_add_f64_e64 v[30:31], v[114:115], -v[30:31]
	;; [unrolled: 1-line block ×10, first 2 shown]
	v_fma_f64 v[2:3], v[112:113], 2.0, -v[28:29]
	v_fma_f64 v[56:57], v[114:115], 2.0, -v[30:31]
	;; [unrolled: 1-line block ×10, first 2 shown]
	ds_store_2addr_b64 v144, v[2:3], v[28:29] offset1:2
	ds_store_2addr_b64 v145, v[56:57], v[30:31] offset1:2
	;; [unrolled: 1-line block ×10, first 2 shown]
	global_wb scope:SCOPE_SE
	s_wait_dscnt 0x0
	s_barrier_signal -1
	s_barrier_wait -1
	global_inv scope:SCOPE_SE
	ds_load_2addr_b64 v[16:19], v133 offset1:63
	ds_load_2addr_b64 v[64:67], v143 offset0:164 offset1:227
	ds_load_2addr_b64 v[68:71], v142 offset0:72 offset1:135
	;; [unrolled: 1-line block ×8, first 2 shown]
	s_and_saveexec_b32 s1, s0
	s_cbranch_execz .LBB0_17
; %bb.16:
	ds_load_b64 v[74:75], v133 offset:3024
	ds_load_b64 v[72:73], v133 offset:6384
	;; [unrolled: 1-line block ×3, first 2 shown]
.LBB0_17:
	s_wait_alu 0xfffe
	s_or_b32 exec_lo, exec_lo, s1
	v_and_b32_e32 v115, 3, v130
	v_and_b32_e32 v188, 3, v137
	;; [unrolled: 1-line block ×5, first 2 shown]
	v_lshlrev_b32_e32 v82, 5, v115
	v_lshlrev_b32_e32 v83, 5, v188
	;; [unrolled: 1-line block ×4, first 2 shown]
	v_and_b32_e32 v191, 3, v131
	s_clause 0xb
	global_load_b128 v[78:81], v82, s[4:5] offset:32
	global_load_b128 v[106:109], v82, s[4:5] offset:48
	;; [unrolled: 1-line block ×9, first 2 shown]
	global_load_b64 v[82:83], v83, s[4:5] offset:56
	global_load_b128 v[162:165], v84, s[4:5] offset:40
	global_load_b64 v[84:85], v84, s[4:5] offset:56
	v_lshlrev_b32_e32 v86, 5, v190
	s_mov_b32 s6, 0xe8584caa
	s_mov_b32 s7, 0xbfebb67a
	v_lshlrev_b32_e32 v87, 5, v191
	s_clause 0x1
	global_load_b64 v[110:111], v86, s[4:5] offset:32
	global_load_b64 v[113:114], v87, s[4:5] offset:32
	s_mov_b32 s9, 0x3febb67a
	s_wait_alu 0xfffe
	s_mov_b32 s8, s6
	global_wb scope:SCOPE_SE
	s_wait_loadcnt_dscnt 0x0
	s_barrier_signal -1
	s_barrier_wait -1
	global_inv scope:SCOPE_SE
	v_mul_f64_e32 v[86:87], v[64:65], v[80:81]
	v_mul_f64_e32 v[88:89], v[68:69], v[108:109]
	;; [unrolled: 1-line block ×28, first 2 shown]
	v_fma_f64 v[102:103], v[48:49], v[78:79], v[86:87]
	v_fma_f64 v[104:105], v[52:53], v[106:107], v[88:89]
	;; [unrolled: 1-line block ×14, first 2 shown]
	v_fma_f64 v[64:65], v[64:65], v[78:79], -v[178:179]
	v_fma_f64 v[48:49], v[68:69], v[106:107], -v[180:181]
	;; [unrolled: 1-line block ×6, first 2 shown]
	v_lshrrev_b32_e32 v122, 2, v134
	v_fma_f64 v[58:59], v[24:25], v[106:107], -v[108:109]
	v_fma_f64 v[70:71], v[26:27], v[138:139], -v[184:185]
	;; [unrolled: 1-line block ×8, first 2 shown]
	v_lshrrev_b32_e32 v114, 2, v130
	v_lshrrev_b32_e32 v113, 2, v136
	v_add_f64_e32 v[38:39], v[20:21], v[102:103]
	v_add_f64_e32 v[32:33], v[102:103], v[104:105]
	;; [unrolled: 1-line block ×14, first 2 shown]
	v_add_f64_e64 v[40:41], v[64:65], -v[48:49]
	v_add_f64_e32 v[38:39], v[38:39], v[104:105]
	v_fma_f64 v[20:21], v[32:33], -0.5, v[20:21]
	v_add_f64_e64 v[32:33], v[66:67], -v[50:51]
	v_fma_f64 v[22:23], v[28:29], -0.5, v[22:23]
	v_add_f64_e64 v[28:29], v[68:69], -v[52:53]
	;; [unrolled: 2-line block ×5, first 2 shown]
	v_fma_f64 v[36:37], v[36:37], -0.5, v[120:121]
	v_add_f64_e32 v[124:125], v[72:73], v[98:99]
	v_fma_f64 v[4:5], v[26:27], -0.5, v[4:5]
	v_add_f64_e64 v[26:27], v[108:109], -v[70:71]
	v_add_f64_e32 v[126:127], v[76:77], v[100:101]
	v_add_f64_e32 v[72:73], v[78:79], v[90:91]
	;; [unrolled: 1-line block ×5, first 2 shown]
	v_lshrrev_b32_e32 v120, 2, v132
	v_lshrrev_b32_e32 v121, 2, v131
	v_fma_f64 v[128:129], v[40:41], s[6:7], v[20:21]
	s_wait_alu 0xfffe
	v_fma_f64 v[20:21], v[40:41], s[8:9], v[20:21]
	v_fma_f64 v[40:41], v[32:33], s[6:7], v[22:23]
	;; [unrolled: 1-line block ×13, first 2 shown]
	v_lshrrev_b32_e32 v26, 2, v135
	v_lshrrev_b32_e32 v27, 2, v137
	v_mul_u32_u24_e32 v34, 12, v114
	v_mul_u32_u24_e32 v35, 12, v120
	;; [unrolled: 1-line block ×6, first 2 shown]
	v_or_b32_e32 v34, v34, v115
	v_or_b32_e32 v35, v35, v190
	v_or_b32_e32 v36, v36, v191
	v_or_b32_e32 v37, v37, v189
	v_or_b32_e32 v26, v26, v115
	v_or_b32_e32 v27, v27, v188
	v_lshl_add_u32 v123, v34, 3, 0
	v_lshl_add_u32 v122, v35, 3, 0
	;; [unrolled: 1-line block ×6, first 2 shown]
	ds_store_2addr_b64 v123, v[38:39], v[128:129] offset1:4
	ds_store_b64 v123, v[20:21] offset:64
	ds_store_2addr_b64 v122, v[42:43], v[40:41] offset1:4
	ds_store_b64 v122, v[22:23] offset:64
	;; [unrolled: 2-line block ×6, first 2 shown]
	s_and_saveexec_b32 s1, s0
	s_cbranch_execz .LBB0_19
; %bb.18:
	v_mul_u32_u24_e32 v4, 12, v113
	s_delay_alu instid0(VALU_DEP_1) | instskip(NEXT) | instid1(VALU_DEP_1)
	v_or_b32_e32 v4, v4, v112
	v_lshl_add_u32 v4, v4, 3, 0
	ds_store_2addr_b64 v4, v[72:73], v[76:77] offset1:4
	ds_store_b64 v4, v[78:79] offset:64
.LBB0_19:
	s_wait_alu 0xfffe
	s_or_b32 exec_lo, exec_lo, s1
	v_add_nc_u32_e32 v32, 0x1000, v133
	v_add_nc_u32_e32 v12, 0x800, v133
	;; [unrolled: 1-line block ×6, first 2 shown]
	global_wb scope:SCOPE_SE
	s_wait_dscnt 0x0
	s_barrier_signal -1
	s_barrier_wait -1
	global_inv scope:SCOPE_SE
	ds_load_2addr_b64 v[4:7], v133 offset1:63
	ds_load_2addr_b64 v[24:27], v12 offset0:164 offset1:227
	ds_load_2addr_b64 v[28:31], v13 offset0:72 offset1:135
	;; [unrolled: 1-line block ×8, first 2 shown]
	s_and_saveexec_b32 s1, s0
	s_cbranch_execz .LBB0_21
; %bb.20:
	ds_load_b64 v[72:73], v133 offset:3024
	ds_load_b64 v[76:77], v133 offset:6384
	;; [unrolled: 1-line block ×3, first 2 shown]
.LBB0_21:
	s_wait_alu 0xfffe
	s_or_b32 exec_lo, exec_lo, s1
	v_add_f64_e32 v[124:125], v[64:65], v[48:49]
	v_add_f64_e32 v[126:127], v[66:67], v[50:51]
	;; [unrolled: 1-line block ×8, first 2 shown]
	v_add_f64_e64 v[102:103], v[102:103], -v[104:105]
	v_add_f64_e32 v[66:67], v[18:19], v[66:67]
	v_add_f64_e32 v[68:69], v[8:9], v[68:69]
	;; [unrolled: 1-line block ×5, first 2 shown]
	v_add_f64_e64 v[80:81], v[80:81], -v[92:93]
	v_add_f64_e64 v[82:83], v[82:83], -v[94:95]
	;; [unrolled: 1-line block ×3, first 2 shown]
	v_add_f64_e32 v[60:61], v[10:11], v[60:61]
	v_add_f64_e64 v[84:85], v[84:85], -v[96:97]
	v_add_f64_e64 v[86:87], v[86:87], -v[98:99]
	;; [unrolled: 1-line block ×3, first 2 shown]
	s_mov_b32 s6, 0xe8584caa
	s_mov_b32 s7, 0x3febb67a
	;; [unrolled: 1-line block ×3, first 2 shown]
	s_wait_alu 0xfffe
	s_mov_b32 s8, s6
	global_wb scope:SCOPE_SE
	s_wait_dscnt 0x0
	s_barrier_signal -1
	s_barrier_wait -1
	global_inv scope:SCOPE_SE
	v_fma_f64 v[16:17], v[124:125], -0.5, v[16:17]
	v_fma_f64 v[18:19], v[126:127], -0.5, v[18:19]
	;; [unrolled: 1-line block ×7, first 2 shown]
	v_add_f64_e32 v[48:49], v[64:65], v[48:49]
	v_add_f64_e32 v[50:51], v[66:67], v[50:51]
	;; [unrolled: 1-line block ×7, first 2 shown]
	v_fma_f64 v[62:63], v[102:103], s[6:7], v[16:17]
	v_fma_f64 v[64:65], v[80:81], s[6:7], v[18:19]
	s_wait_alu 0xfffe
	v_fma_f64 v[18:19], v[80:81], s[8:9], v[18:19]
	v_fma_f64 v[66:67], v[82:83], s[6:7], v[8:9]
	;; [unrolled: 1-line block ×12, first 2 shown]
	ds_store_2addr_b64 v123, v[48:49], v[62:63] offset1:4
	ds_store_b64 v123, v[16:17] offset:64
	ds_store_2addr_b64 v122, v[50:51], v[64:65] offset1:4
	ds_store_b64 v122, v[18:19] offset:64
	;; [unrolled: 2-line block ×6, first 2 shown]
	s_and_saveexec_b32 s1, s0
	s_cbranch_execz .LBB0_23
; %bb.22:
	v_mul_u32_u24_e32 v0, 12, v113
	s_delay_alu instid0(VALU_DEP_1) | instskip(NEXT) | instid1(VALU_DEP_1)
	v_or_b32_e32 v0, v0, v112
	v_lshl_add_u32 v0, v0, 3, 0
	ds_store_2addr_b64 v0, v[74:75], v[82:83] offset1:4
	ds_store_b64 v0, v[80:81] offset:64
.LBB0_23:
	s_wait_alu 0xfffe
	s_or_b32 exec_lo, exec_lo, s1
	v_add_nc_u32_e32 v48, 0x1000, v133
	v_add_nc_u32_e32 v8, 0x800, v133
	;; [unrolled: 1-line block ×6, first 2 shown]
	global_wb scope:SCOPE_SE
	s_wait_dscnt 0x0
	s_barrier_signal -1
	s_barrier_wait -1
	global_inv scope:SCOPE_SE
	ds_load_2addr_b64 v[0:3], v133 offset1:63
	ds_load_2addr_b64 v[56:59], v8 offset0:164 offset1:227
	ds_load_2addr_b64 v[60:63], v9 offset0:72 offset1:135
	;; [unrolled: 1-line block ×8, first 2 shown]
	s_and_saveexec_b32 s1, s0
	s_cbranch_execz .LBB0_25
; %bb.24:
	ds_load_b64 v[74:75], v133 offset:3024
	ds_load_b64 v[82:83], v133 offset:6384
	;; [unrolled: 1-line block ×3, first 2 shown]
.LBB0_25:
	s_wait_alu 0xfffe
	s_or_b32 exec_lo, exec_lo, s1
	v_and_b32_e32 v84, 0xff, v130
	v_and_b32_e32 v102, 0xff, v132
	;; [unrolled: 1-line block ×5, first 2 shown]
	v_mul_lo_u16 v84, 0xab, v84
	v_mul_lo_u16 v85, 0xab, v102
	;; [unrolled: 1-line block ×3, first 2 shown]
	v_mul_u32_u24_e32 v86, 0xaaab, v86
	v_mul_lo_u16 v89, 0xab, v100
	v_lshrrev_b16 v115, 11, v84
	v_lshrrev_b16 v185, 11, v85
	v_and_b32_e32 v84, 0xffff, v137
	v_and_b32_e32 v85, 0xffff, v136
	v_lshrrev_b16 v186, 11, v87
	v_mul_lo_u16 v88, v115, 12
	v_mul_lo_u16 v90, v185, 12
	v_mul_u32_u24_e32 v84, 0xaaab, v84
	v_mul_u32_u24_e32 v85, 0xaaab, v85
	v_lshrrev_b32_e32 v189, 19, v86
	v_sub_nc_u16 v88, v130, v88
	v_sub_nc_u16 v90, v132, v90
	v_mul_lo_u16 v86, v186, 12
	v_lshrrev_b16 v187, 11, v89
	v_lshrrev_b32_e32 v191, 19, v84
	v_and_b32_e32 v188, 0xff, v88
	v_and_b32_e32 v190, 0xff, v90
	v_sub_nc_u16 v86, v131, v86
	v_lshrrev_b32_e32 v192, 19, v85
	v_mul_lo_u16 v87, v187, 12
	v_lshlrev_b32_e32 v88, 5, v188
	v_lshlrev_b32_e32 v84, 5, v190
	v_mul_lo_u16 v85, v191, 12
	v_and_b32_e32 v193, 0xff, v86
	v_mul_lo_u16 v86, v192, 12
	s_clause 0x3
	global_load_b128 v[103:106], v88, s[4:5] offset:176
	global_load_b128 v[107:110], v88, s[4:5] offset:160
	;; [unrolled: 1-line block ×4, first 2 shown]
	v_mul_lo_u16 v84, v189, 12
	v_sub_nc_u16 v87, v134, v87
	v_sub_nc_u16 v85, v137, v85
	;; [unrolled: 1-line block ×3, first 2 shown]
	s_mov_b32 s8, 0xe8584caa
	v_sub_nc_u16 v84, v135, v84
	v_and_b32_e32 v194, 0xff, v87
	v_and_b32_e32 v196, 0xffff, v85
	;; [unrolled: 1-line block ×3, first 2 shown]
	v_lshlrev_b32_e32 v87, 5, v193
	v_and_b32_e32 v195, 0xffff, v84
	v_lshlrev_b32_e32 v88, 5, v194
	v_lshlrev_b32_e32 v85, 5, v196
	;; [unrolled: 1-line block ×3, first 2 shown]
	s_clause 0x1
	global_load_b128 v[124:127], v87, s[4:5] offset:176
	global_load_b128 v[135:138], v87, s[4:5] offset:160
	v_lshlrev_b32_e32 v84, 5, v195
	s_clause 0x1
	global_load_b128 v[139:142], v88, s[4:5] offset:160
	global_load_b128 v[143:146], v88, s[4:5] offset:176
	s_mov_b32 s9, 0xbfebb67a
	s_mov_b32 s7, 0x3febb67a
	s_clause 0x5
	global_load_b128 v[147:150], v84, s[4:5] offset:160
	global_load_b128 v[151:154], v84, s[4:5] offset:176
	;; [unrolled: 1-line block ×6, first 2 shown]
	s_wait_alu 0xfffe
	s_mov_b32 s6, s8
	v_and_b32_e32 v115, 0xffff, v115
	global_wb scope:SCOPE_SE
	s_wait_loadcnt_dscnt 0x0
	s_barrier_signal -1
	s_barrier_wait -1
	global_inv scope:SCOPE_SE
	v_mul_f64_e32 v[86:87], v[60:61], v[105:106]
	v_mul_f64_e32 v[84:85], v[56:57], v[109:110]
	;; [unrolled: 1-line block ×28, first 2 shown]
	v_fma_f64 v[98:99], v[28:29], v[103:104], v[86:87]
	v_fma_f64 v[96:97], v[24:25], v[107:108], v[84:85]
	;; [unrolled: 1-line block ×4, first 2 shown]
	v_fma_f64 v[56:57], v[56:57], v[107:108], -v[109:110]
	v_fma_f64 v[24:25], v[60:61], v[103:104], -v[105:106]
	;; [unrolled: 1-line block ×4, first 2 shown]
	v_fma_f64 v[90:91], v[44:45], v[124:125], v[94:95]
	v_fma_f64 v[86:87], v[40:41], v[135:136], v[92:93]
	;; [unrolled: 1-line block ×10, first 2 shown]
	v_fma_f64 v[60:61], v[64:65], v[135:136], -v[137:138]
	v_fma_f64 v[62:63], v[66:67], v[139:140], -v[141:142]
	v_fma_f64 v[30:31], v[70:71], v[143:144], -v[145:146]
	v_fma_f64 v[52:53], v[52:53], v[147:148], -v[149:150]
	v_fma_f64 v[40:41], v[82:83], v[163:164], -v[165:166]
	v_fma_f64 v[42:43], v[80:81], v[167:168], -v[169:170]
	v_fma_f64 v[28:29], v[68:69], v[124:125], -v[126:127]
	v_fma_f64 v[48:49], v[48:49], v[151:152], -v[153:154]
	v_fma_f64 v[54:55], v[54:55], v[155:156], -v[157:158]
	v_fma_f64 v[50:51], v[50:51], v[159:160], -v[161:162]
	v_and_b32_e32 v137, 0xffff, v185
	v_add_f64_e32 v[64:65], v[96:97], v[98:99]
	v_add_f64_e32 v[82:83], v[4:5], v[96:97]
	;; [unrolled: 1-line block ×4, first 2 shown]
	v_and_b32_e32 v138, 0xffff, v186
	v_add_f64_e64 v[103:104], v[56:57], -v[24:25]
	v_lshlrev_b32_e32 v139, 3, v195
	v_add_f64_e64 v[120:121], v[58:59], -v[26:27]
	v_lshlrev_b32_e32 v140, 3, v196
	v_add_f64_e32 v[68:69], v[86:87], v[90:91]
	v_add_f64_e32 v[107:108], v[12:13], v[86:87]
	;; [unrolled: 1-line block ×9, first 2 shown]
	v_add_f64_e64 v[122:123], v[60:61], -v[28:29]
	v_fma_f64 v[64:65], v[64:65], -0.5, v[4:5]
	v_fma_f64 v[66:67], v[66:67], -0.5, v[6:7]
	v_add_f64_e64 v[6:7], v[40:41], -v[42:43]
	v_fma_f64 v[12:13], v[68:69], -0.5, v[12:13]
	v_add_f64_e64 v[68:69], v[62:63], -v[30:31]
	;; [unrolled: 2-line block ×3, first 2 shown]
	v_fma_f64 v[4:5], v[80:81], -0.5, v[72:73]
	v_fma_f64 v[14:15], v[70:71], -0.5, v[14:15]
	v_add_f64_e64 v[70:71], v[52:53], -v[48:49]
	v_fma_f64 v[22:23], v[78:79], -0.5, v[22:23]
	v_add_f64_e32 v[78:79], v[82:83], v[98:99]
	v_add_f64_e32 v[82:83], v[105:106], v[88:89]
	;; [unrolled: 1-line block ×6, first 2 shown]
	v_fma_f64 v[113:114], v[103:104], s[8:9], v[64:65]
	s_wait_alu 0xfffe
	v_fma_f64 v[103:104], v[103:104], s[6:7], v[64:65]
	v_and_b32_e32 v65, 0xffff, v187
	v_fma_f64 v[124:125], v[120:121], s[8:9], v[66:67]
	v_fma_f64 v[120:121], v[120:121], s[6:7], v[66:67]
	v_mul_u32_u24_e32 v66, 0x120, v189
	v_mul_u32_u24_e32 v67, 0x120, v115
	v_lshlrev_b32_e32 v115, 3, v190
	v_mul_lo_u16 v64, v192, 36
	v_fma_f64 v[126:127], v[122:123], s[8:9], v[12:13]
	v_fma_f64 v[12:13], v[122:123], s[6:7], v[12:13]
	;; [unrolled: 1-line block ×9, first 2 shown]
	v_mul_u32_u24_e32 v76, 0x120, v191
	v_mul_u32_u24_e32 v68, 0x120, v137
	;; [unrolled: 1-line block ×4, first 2 shown]
	v_lshlrev_b32_e32 v70, 3, v188
	v_lshlrev_b32_e32 v137, 3, v193
	;; [unrolled: 1-line block ×4, first 2 shown]
	s_delay_alu instid0(VALU_DEP_4)
	v_add3_u32 v71, 0, v67, v70
	v_add3_u32 v70, 0, v68, v115
	;; [unrolled: 1-line block ×6, first 2 shown]
	ds_store_2addr_b64 v71, v[78:79], v[113:114] offset1:12
	ds_store_b64 v71, v[103:104] offset:192
	ds_store_2addr_b64 v70, v[82:83], v[124:125] offset1:12
	ds_store_b64 v70, v[120:121] offset:192
	;; [unrolled: 2-line block ×6, first 2 shown]
	s_and_saveexec_b32 s1, s0
	s_cbranch_execz .LBB0_27
; %bb.26:
	v_mul_f64_e32 v[6:7], s[6:7], v[6:7]
	v_add_f64_e32 v[12:13], v[72:73], v[32:33]
	s_delay_alu instid0(VALU_DEP_2) | instskip(NEXT) | instid1(VALU_DEP_2)
	v_add_f64_e64 v[4:5], v[4:5], -v[6:7]
	v_add_f64_e32 v[6:7], v[12:13], v[36:37]
	v_and_b32_e32 v12, 0xffff, v64
	s_delay_alu instid0(VALU_DEP_1) | instskip(NEXT) | instid1(VALU_DEP_1)
	v_lshlrev_b32_e32 v12, 3, v12
	v_add3_u32 v12, 0, v65, v12
	ds_store_2addr_b64 v12, v[6:7], v[4:5] offset1:12
	ds_store_b64 v12, v[80:81] offset:192
.LBB0_27:
	s_wait_alu 0xfffe
	s_or_b32 exec_lo, exec_lo, s1
	v_add_f64_e32 v[4:5], v[56:57], v[24:25]
	v_add_f64_e32 v[12:13], v[60:61], v[28:29]
	;; [unrolled: 1-line block ×8, first 2 shown]
	v_add_f64_e64 v[76:77], v[96:97], -v[98:99]
	v_add_f64_e32 v[60:61], v[8:9], v[60:61]
	v_add_f64_e32 v[62:63], v[10:11], v[62:63]
	;; [unrolled: 1-line block ×5, first 2 shown]
	global_wb scope:SCOPE_SE
	s_wait_dscnt 0x0
	s_barrier_signal -1
	s_barrier_wait -1
	global_inv scope:SCOPE_SE
	v_fma_f64 v[0:1], v[4:5], -0.5, v[0:1]
	v_fma_f64 v[8:9], v[12:13], -0.5, v[8:9]
	v_add_f64_e64 v[12:13], v[44:45], -v[92:93]
	v_fma_f64 v[10:11], v[14:15], -0.5, v[10:11]
	v_add_f64_e64 v[14:15], v[46:47], -v[94:95]
	v_add_f64_e64 v[46:47], v[32:33], -v[36:37]
	v_fma_f64 v[44:45], v[72:73], -0.5, v[74:75]
	v_add_f64_e64 v[4:5], v[84:85], -v[88:89]
	v_fma_f64 v[2:3], v[6:7], -0.5, v[2:3]
	;; [unrolled: 2-line block ×4, first 2 shown]
	v_add_f64_e32 v[56:57], v[56:57], v[24:25]
	v_add_f64_e32 v[58:59], v[58:59], v[26:27]
	;; [unrolled: 1-line block ×5, first 2 shown]
	v_add_nc_u32_e32 v53, 0x400, v133
	v_add_f64_e32 v[78:79], v[54:55], v[50:51]
	v_add_nc_u32_e32 v54, 0xc00, v133
	v_add_nc_u32_e32 v48, 0x1400, v133
	;; [unrolled: 1-line block ×7, first 2 shown]
	v_fma_f64 v[84:85], v[76:77], s[6:7], v[0:1]
	v_fma_f64 v[76:77], v[76:77], s[8:9], v[0:1]
	;; [unrolled: 1-line block ×13, first 2 shown]
	ds_load_2addr_b64 v[0:3], v133 offset1:63
	ds_load_2addr_b64 v[4:7], v133 offset0:126 offset1:189
	ds_load_2addr_b64 v[36:39], v53 offset0:124 offset1:187
	;; [unrolled: 1-line block ×9, first 2 shown]
	global_wb scope:SCOPE_SE
	s_wait_dscnt 0x0
	s_barrier_signal -1
	s_barrier_wait -1
	global_inv scope:SCOPE_SE
	ds_store_2addr_b64 v71, v[56:57], v[84:85] offset1:12
	ds_store_b64 v71, v[76:77] offset:192
	ds_store_2addr_b64 v70, v[58:59], v[86:87] offset1:12
	ds_store_b64 v70, v[88:89] offset:192
	;; [unrolled: 2-line block ×6, first 2 shown]
	s_and_saveexec_b32 s1, s0
	s_cbranch_execz .LBB0_29
; %bb.28:
	v_add_f64_e32 v[40:41], v[74:75], v[40:41]
	v_mul_f64_e32 v[46:47], s[6:7], v[46:47]
	s_delay_alu instid0(VALU_DEP_2) | instskip(NEXT) | instid1(VALU_DEP_2)
	v_add_f64_e32 v[40:41], v[40:41], v[42:43]
	v_add_f64_e32 v[42:43], v[46:47], v[44:45]
	v_and_b32_e32 v44, 0xffff, v64
	s_delay_alu instid0(VALU_DEP_1) | instskip(NEXT) | instid1(VALU_DEP_1)
	v_lshlrev_b32_e32 v44, 3, v44
	v_add3_u32 v44, 0, v65, v44
	ds_store_2addr_b64 v44, v[40:41], v[42:43] offset1:12
	ds_store_b64 v44, v[82:83] offset:192
.LBB0_29:
	s_wait_alu 0xfffe
	s_or_b32 exec_lo, exec_lo, s1
	v_mul_lo_u16 v40, v102, 57
	v_subrev_nc_u32_e32 v41, 36, v130
	v_cmp_gt_u32_e64 s0, 36, v130
	v_mul_lo_u16 v44, v101, 57
	v_mul_lo_u16 v46, v100, 57
	v_lshrrev_b16 v40, 11, v40
	global_wb scope:SCOPE_SE
	s_wait_dscnt 0x0
	s_wait_alu 0xf1ff
	v_cndmask_b32_e64 v41, v41, v130, s0
	v_mov_b32_e32 v43, 0
	v_lshrrev_b16 v202, 11, v44
	v_mul_lo_u16 v45, v40, 36
	v_lshrrev_b16 v203, 11, v46
	v_lshlrev_b32_e32 v42, 2, v41
	s_barrier_signal -1
	s_barrier_wait -1
	v_sub_nc_u16 v44, v132, v45
	v_mul_lo_u16 v45, v202, 36
	v_lshlrev_b64_e32 v[42:43], 4, v[42:43]
	v_mul_lo_u16 v60, v203, 36
	global_inv scope:SCOPE_SE
	v_and_b32_e32 v204, 0xff, v44
	v_sub_nc_u16 v61, v131, v45
	s_mov_b32 s6, 0x134454ff
	v_add_co_u32 v46, s0, s4, v42
	s_wait_alu 0xf1ff
	v_add_co_ci_u32_e64 v47, s0, s5, v43, s0
	v_lshlrev_b32_e32 v66, 6, v204
	v_sub_nc_u16 v60, v134, v60
	s_clause 0x1
	global_load_b128 v[42:45], v[46:47], off offset:560
	global_load_b128 v[56:59], v[46:47], off offset:544
	v_and_b32_e32 v205, 0xff, v61
	s_clause 0x5
	global_load_b128 v[62:65], v66, s[4:5] offset:544
	global_load_b128 v[70:73], v[46:47], off offset:592
	global_load_b128 v[108:111], v[46:47], off offset:576
	global_load_b128 v[112:115], v66, s[4:5] offset:560
	global_load_b128 v[120:123], v66, s[4:5] offset:592
	;; [unrolled: 1-line block ×3, first 2 shown]
	v_and_b32_e32 v206, 0xff, v60
	s_mov_b32 s7, 0xbfee6f0e
	v_lshlrev_b32_e32 v46, 6, v205
	s_mov_b32 s9, 0x3fee6f0e
	s_wait_alu 0xfffe
	s_mov_b32 s8, s6
	v_lshlrev_b32_e32 v47, 6, v206
	s_clause 0x7
	global_load_b128 v[134:137], v46, s[4:5] offset:544
	global_load_b128 v[138:141], v46, s[4:5] offset:560
	;; [unrolled: 1-line block ×8, first 2 shown]
	ds_load_2addr_b64 v[166:169], v53 offset0:124 offset1:187
	ds_load_2addr_b64 v[170:173], v54 offset0:120 offset1:183
	;; [unrolled: 1-line block ×8, first 2 shown]
	s_mov_b32 s12, 0x4755a5e
	s_mov_b32 s13, 0xbfe2cf23
	;; [unrolled: 1-line block ×6, first 2 shown]
	v_cmp_lt_u32_e64 s0, 35, v130
	v_and_b32_e32 v40, 0xffff, v40
	s_wait_loadcnt_dscnt 0xf06
	v_mul_f64_e32 v[60:61], v[170:171], v[44:45]
	s_wait_loadcnt 0xe
	v_mul_f64_e32 v[46:47], v[166:167], v[58:59]
	s_wait_loadcnt_dscnt 0xc04
	v_mul_f64_e32 v[76:77], v[178:179], v[72:73]
	s_wait_loadcnt 0xb
	v_mul_f64_e32 v[68:69], v[174:175], v[110:111]
	s_wait_loadcnt 0xa
	;; [unrolled: 2-line block ×3, first 2 shown]
	v_mul_f64_e32 v[84:85], v[176:177], v[126:127]
	v_mul_f64_e32 v[53:54], v[168:169], v[64:65]
	;; [unrolled: 1-line block ×3, first 2 shown]
	s_wait_loadcnt_dscnt 0x703
	v_mul_f64_e32 v[90:91], v[182:183], v[136:137]
	s_wait_loadcnt_dscnt 0x602
	v_mul_f64_e32 v[92:93], v[186:187], v[140:141]
	;; [unrolled: 2-line block ×4, first 2 shown]
	s_wait_loadcnt 0x2
	v_mul_f64_e32 v[128:129], v[188:189], v[156:157]
	s_wait_loadcnt 0x1
	v_mul_f64_e32 v[198:199], v[192:193], v[160:161]
	v_mul_f64_e32 v[104:105], v[184:185], v[152:153]
	s_wait_loadcnt 0x0
	v_mul_f64_e32 v[200:201], v[196:197], v[164:165]
	v_mul_f64_e32 v[58:59], v[36:37], v[58:59]
	;; [unrolled: 1-line block ×15, first 2 shown]
	v_fma_f64 v[96:97], v[24:25], v[42:43], v[60:61]
	v_fma_f64 v[74:75], v[36:37], v[56:57], v[46:47]
	;; [unrolled: 1-line block ×12, first 2 shown]
	v_mul_f64_e32 v[38:39], v[22:23], v[164:165]
	v_fma_f64 v[84:85], v[14:15], v[154:155], v[128:129]
	v_fma_f64 v[94:95], v[18:19], v[158:159], v[198:199]
	v_mul_f64_e32 v[36:37], v[18:19], v[160:161]
	v_fma_f64 v[92:93], v[10:11], v[150:151], v[104:105]
	v_fma_f64 v[104:105], v[22:23], v[162:163], v[200:201]
	v_fma_f64 v[68:69], v[166:167], v[56:57], -v[58:59]
	v_fma_f64 v[24:25], v[178:179], v[70:71], -v[72:73]
	;; [unrolled: 1-line block ×14, first 2 shown]
	v_add_f64_e32 v[32:33], v[0:1], v[74:75]
	v_add_f64_e32 v[10:11], v[74:75], v[106:107]
	;; [unrolled: 1-line block ×3, first 2 shown]
	v_add_f64_e64 v[122:123], v[106:107], -v[98:99]
	v_add_f64_e32 v[12:13], v[76:77], v[86:87]
	v_add_f64_e64 v[124:125], v[96:97], -v[74:75]
	v_add_f64_e32 v[14:15], v[66:67], v[100:101]
	v_add_f64_e32 v[42:43], v[4:5], v[88:89]
	v_add_f64_e64 v[126:127], v[98:99], -v[106:107]
	v_add_f64_e32 v[16:17], v[78:79], v[90:91]
	v_add_f64_e32 v[18:19], v[88:89], v[102:103]
	v_fma_f64 v[108:109], v[196:197], v[162:163], -v[38:39]
	v_add_f64_e32 v[38:39], v[2:3], v[66:67]
	v_add_f64_e32 v[20:21], v[84:85], v[94:95]
	v_fma_f64 v[114:115], v[192:193], v[158:159], -v[36:37]
	v_add_f64_e32 v[44:45], v[6:7], v[92:93]
	v_add_f64_e32 v[22:23], v[92:93], v[104:105]
	v_add_f64_e64 v[128:129], v[66:67], -v[76:77]
	v_add_f64_e64 v[34:35], v[68:69], -v[24:25]
	;; [unrolled: 1-line block ×16, first 2 shown]
	v_add_f64_e32 v[32:33], v[32:33], v[96:97]
	v_fma_f64 v[8:9], v[8:9], -0.5, v[0:1]
	v_fma_f64 v[0:1], v[10:11], -0.5, v[0:1]
	;; [unrolled: 1-line block ×3, first 2 shown]
	v_add_f64_e64 v[10:11], v[62:63], -v[30:31]
	v_fma_f64 v[2:3], v[14:15], -0.5, v[2:3]
	v_add_f64_e64 v[14:15], v[64:65], -v[56:57]
	v_add_f64_e32 v[42:43], v[42:43], v[78:79]
	v_fma_f64 v[16:17], v[16:17], -0.5, v[4:5]
	v_fma_f64 v[4:5], v[18:19], -0.5, v[4:5]
	v_add_f64_e64 v[120:121], v[110:111], -v[108:109]
	v_add_f64_e32 v[38:39], v[38:39], v[76:77]
	v_fma_f64 v[20:21], v[20:21], -0.5, v[6:7]
	v_add_f64_e64 v[18:19], v[112:113], -v[114:115]
	v_add_f64_e32 v[44:45], v[44:45], v[84:85]
	;; [unrolled: 3-line block ×3, first 2 shown]
	v_fma_f64 v[156:157], v[34:35], s[6:7], v[8:9]
	s_wait_alu 0xfffe
	v_fma_f64 v[8:9], v[34:35], s[8:9], v[8:9]
	v_fma_f64 v[158:159], v[36:37], s[8:9], v[0:1]
	;; [unrolled: 1-line block ×15, first 2 shown]
	v_add_f64_e32 v[22:23], v[22:23], v[122:123]
	v_add_f64_e32 v[122:123], v[124:125], v[126:127]
	;; [unrolled: 1-line block ×12, first 2 shown]
	v_fma_f64 v[140:141], v[36:37], s[12:13], v[156:157]
	v_fma_f64 v[8:9], v[36:37], s[14:15], v[8:9]
	;; [unrolled: 1-line block ×16, first 2 shown]
	v_add_f64_e32 v[2:3], v[44:45], v[104:105]
	v_add_f64_e32 v[38:39], v[38:39], v[100:101]
	;; [unrolled: 1-line block ×3, first 2 shown]
	v_fma_f64 v[44:45], v[22:23], s[16:17], v[140:141]
	v_fma_f64 v[140:141], v[22:23], s[16:17], v[8:9]
	;; [unrolled: 1-line block ×16, first 2 shown]
	s_wait_alu 0xf1ff
	v_cndmask_b32_e64 v18, 0, 0x5a0, s0
	v_lshlrev_b32_e32 v19, 3, v41
	v_and_b32_e32 v41, 0xffff, v202
	v_and_b32_e32 v53, 0xffff, v203
	v_lshlrev_b32_e32 v54, 3, v206
	ds_load_2addr_b64 v[12:15], v133 offset1:63
	v_add3_u32 v120, 0, v18, v19
	v_mul_u32_u24_e32 v18, 0x5a0, v40
	v_mul_u32_u24_e32 v19, 0x5a0, v41
	v_lshlrev_b32_e32 v41, 3, v204
	v_mul_u32_u24_e32 v40, 0x5a0, v53
	v_lshlrev_b32_e32 v53, 3, v205
	ds_load_2addr_b64 v[20:23], v133 offset0:126 offset1:189
	global_wb scope:SCOPE_SE
	s_wait_dscnt 0x0
	v_add3_u32 v123, 0, v18, v41
	s_barrier_signal -1
	s_barrier_wait -1
	global_inv scope:SCOPE_SE
	v_add3_u32 v122, 0, v19, v53
	v_add3_u32 v121, 0, v40, v54
	ds_store_2addr_b64 v120, v[32:33], v[44:45] offset1:36
	ds_store_2addr_b64 v120, v[36:37], v[146:147] offset0:72 offset1:108
	ds_store_b64 v120, v[140:141] offset:1152
	ds_store_2addr_b64 v123, v[38:39], v[34:35] offset1:36
	ds_store_2addr_b64 v123, v[148:149], v[46:47] offset0:72 offset1:108
	ds_store_b64 v123, v[124:125] offset:1152
	;; [unrolled: 3-line block ×4, first 2 shown]
	global_wb scope:SCOPE_SE
	s_wait_dscnt 0x0
	s_barrier_signal -1
	s_barrier_wait -1
	global_inv scope:SCOPE_SE
	ds_load_2addr_b64 v[16:19], v133 offset1:63
	ds_load_2addr_b64 v[44:47], v133 offset0:180 offset1:243
	ds_load_2addr_b64 v[40:43], v49 offset0:104 offset1:167
	;; [unrolled: 1-line block ×6, first 2 shown]
	v_cmp_gt_u32_e64 s0, 54, v130
	s_delay_alu instid0(VALU_DEP_1)
	s_and_saveexec_b32 s1, s0
	s_cbranch_execz .LBB0_31
; %bb.30:
	v_add_nc_u32_e32 v0, 0x200, v133
	v_add_nc_u32_e32 v4, 0xe00, v133
	;; [unrolled: 1-line block ×3, first 2 shown]
	ds_load_2addr_b64 v[0:3], v0 offset0:62 offset1:242
	ds_load_2addr_b64 v[4:7], v4 offset0:38 offset1:218
	;; [unrolled: 1-line block ×3, first 2 shown]
	ds_load_b64 v[80:81], v133 offset:9648
.LBB0_31:
	s_wait_alu 0xfffe
	s_or_b32 exec_lo, exec_lo, s1
	v_add_f64_e32 v[124:125], v[60:61], v[28:29]
	v_add_f64_e32 v[126:127], v[68:69], v[24:25]
	;; [unrolled: 1-line block ×9, first 2 shown]
	v_add_f64_e64 v[74:75], v[74:75], -v[106:107]
	v_add_f64_e64 v[96:97], v[96:97], -v[98:99]
	v_add_f64_e32 v[98:99], v[14:15], v[70:71]
	v_add_f64_e32 v[106:107], v[20:21], v[72:73]
	;; [unrolled: 1-line block ×3, first 2 shown]
	v_add_f64_e64 v[66:67], v[66:67], -v[100:101]
	v_add_f64_e64 v[76:77], v[76:77], -v[86:87]
	;; [unrolled: 1-line block ×12, first 2 shown]
	global_wb scope:SCOPE_SE
	s_wait_dscnt 0x0
	s_barrier_signal -1
	s_barrier_wait -1
	global_inv scope:SCOPE_SE
	v_fma_f64 v[124:125], v[124:125], -0.5, v[12:13]
	v_fma_f64 v[12:13], v[126:127], -0.5, v[12:13]
	;; [unrolled: 1-line block ×8, first 2 shown]
	v_add_f64_e64 v[126:127], v[70:71], -v[62:63]
	v_add_f64_e64 v[70:71], v[62:63], -v[70:71]
	;; [unrolled: 1-line block ×4, first 2 shown]
	v_add_f64_e32 v[60:61], v[144:145], v[60:61]
	v_add_f64_e32 v[62:63], v[98:99], v[62:63]
	;; [unrolled: 1-line block ×3, first 2 shown]
	v_add_f64_e64 v[142:143], v[110:111], -v[112:113]
	v_add_f64_e64 v[110:111], v[112:113], -v[110:111]
	v_add_f64_e32 v[98:99], v[146:147], v[112:113]
	v_add_f64_e64 v[128:129], v[26:27], -v[30:31]
	v_add_f64_e64 v[134:135], v[30:31], -v[26:27]
	;; [unrolled: 1-line block ×4, first 2 shown]
	v_add_f64_e32 v[100:101], v[100:101], v[102:103]
	v_add_f64_e32 v[68:69], v[68:69], v[104:105]
	v_fma_f64 v[106:107], v[74:75], s[8:9], v[124:125]
	v_fma_f64 v[112:113], v[74:75], s[6:7], v[124:125]
	;; [unrolled: 1-line block ×16, first 2 shown]
	v_add_f64_e32 v[28:29], v[60:61], v[28:29]
	v_add_f64_e32 v[30:31], v[62:63], v[30:31]
	;; [unrolled: 1-line block ×10, first 2 shown]
	v_fma_f64 v[62:63], v[96:97], s[14:15], v[106:107]
	v_fma_f64 v[64:65], v[96:97], s[12:13], v[112:113]
	;; [unrolled: 1-line block ×16, first 2 shown]
	v_add_f64_e32 v[28:29], v[28:29], v[24:25]
	v_add_f64_e32 v[30:31], v[30:31], v[26:27]
	;; [unrolled: 1-line block ×4, first 2 shown]
	v_fma_f64 v[58:59], v[100:101], s[16:17], v[62:63]
	v_fma_f64 v[60:61], v[100:101], s[16:17], v[64:65]
	;; [unrolled: 1-line block ×16, first 2 shown]
	v_add_nc_u32_e32 v84, 0x800, v133
	v_add_nc_u32_e32 v85, 0x1000, v133
	;; [unrolled: 1-line block ×5, first 2 shown]
	ds_store_2addr_b64 v120, v[28:29], v[58:59] offset1:36
	ds_store_2addr_b64 v120, v[62:63], v[64:65] offset0:72 offset1:108
	ds_store_b64 v120, v[60:61] offset:1152
	ds_store_2addr_b64 v123, v[30:31], v[68:69] offset1:36
	ds_store_2addr_b64 v123, v[76:77], v[66:67] offset0:72 offset1:108
	ds_store_b64 v123, v[74:75] offset:1152
	;; [unrolled: 3-line block ×4, first 2 shown]
	global_wb scope:SCOPE_SE
	s_wait_dscnt 0x0
	s_barrier_signal -1
	s_barrier_wait -1
	global_inv scope:SCOPE_SE
	ds_load_2addr_b64 v[28:31], v133 offset1:63
	ds_load_2addr_b64 v[68:71], v133 offset0:180 offset1:243
	ds_load_2addr_b64 v[64:67], v84 offset0:104 offset1:167
	;; [unrolled: 1-line block ×6, first 2 shown]
	s_and_saveexec_b32 s1, s0
	s_cbranch_execz .LBB0_33
; %bb.32:
	v_add_nc_u32_e32 v12, 0x200, v133
	v_add_nc_u32_e32 v20, 0xe00, v133
	v_add_nc_u32_e32 v24, 0x1a00, v133
	ds_load_2addr_b64 v[12:15], v12 offset0:62 offset1:242
	ds_load_2addr_b64 v[20:23], v20 offset0:38 offset1:218
	ds_load_2addr_b64 v[24:27], v24 offset0:14 offset1:194
	ds_load_b64 v[82:83], v133 offset:9648
.LBB0_33:
	s_wait_alu 0xfffe
	s_or_b32 exec_lo, exec_lo, s1
	s_and_saveexec_b32 s1, vcc_lo
	s_cbranch_execz .LBB0_36
; %bb.34:
	v_mul_u32_u24_e32 v84, 6, v132
	v_mul_u32_u24_e32 v92, 6, v130
	s_mov_b32 s20, 0xe976ee23
	s_mov_b32 s22, 0x37e14327
	;; [unrolled: 1-line block ×3, first 2 shown]
	v_lshlrev_b32_e32 v124, 4, v84
	v_lshlrev_b32_e32 v128, 4, v92
	s_mov_b32 s14, 0x429ad128
	s_mov_b32 s21, 0x3fe11646
	;; [unrolled: 1-line block ×3, first 2 shown]
	s_clause 0xb
	global_load_b128 v[84:87], v124, s[4:5] offset:2848
	global_load_b128 v[88:91], v124, s[4:5] offset:2928
	;; [unrolled: 1-line block ×12, first 2 shown]
	s_mov_b32 s19, 0x3fac98ee
	s_mov_b32 s15, 0xbfebfeb5
	;; [unrolled: 1-line block ×10, first 2 shown]
	s_wait_alu 0xfffe
	s_mov_b32 s12, s8
	s_mov_b32 s24, s16
	v_lshlrev_b64_e32 v[116:117], 4, v[116:117]
	s_wait_loadcnt 0x9
	v_mul_f64_e32 v[142:143], v[50:51], v[94:95]
	s_wait_loadcnt 0x8
	v_mul_f64_e32 v[144:145], v[42:43], v[98:99]
	s_wait_dscnt 0x4
	v_mul_f64_e32 v[98:99], v[66:67], v[98:99]
	s_wait_dscnt 0x1
	v_mul_f64_e32 v[94:95], v[74:75], v[94:95]
	s_wait_loadcnt 0x7
	v_mul_f64_e32 v[146:147], v[52:53], v[102:103]
	s_wait_loadcnt 0x6
	;; [unrolled: 2-line block ×3, first 2 shown]
	v_mul_f64_e32 v[150:151], v[48:49], v[110:111]
	v_mul_f64_e32 v[128:129], v[70:71], v[86:87]
	s_wait_dscnt 0x0
	v_mul_f64_e32 v[140:141], v[78:79], v[90:91]
	v_mul_f64_e32 v[90:91], v[54:55], v[90:91]
	;; [unrolled: 1-line block ×3, first 2 shown]
	s_wait_loadcnt 0x4
	v_mul_f64_e32 v[152:153], v[40:41], v[114:115]
	v_mul_f64_e32 v[106:107], v[68:69], v[106:107]
	;; [unrolled: 1-line block ×5, first 2 shown]
	s_wait_loadcnt 0x3
	v_mul_f64_e32 v[154:155], v[58:59], v[122:123]
	s_wait_loadcnt 0x2
	v_mul_f64_e32 v[156:157], v[62:63], v[126:127]
	v_mul_f64_e32 v[126:127], v[34:35], v[126:127]
	;; [unrolled: 1-line block ×3, first 2 shown]
	s_wait_loadcnt 0x1
	v_mul_f64_e32 v[158:159], v[56:57], v[134:135]
	s_wait_loadcnt 0x0
	v_mul_f64_e32 v[160:161], v[60:61], v[138:139]
	v_mul_f64_e32 v[138:139], v[32:33], v[138:139]
	;; [unrolled: 1-line block ×3, first 2 shown]
	v_fma_f64 v[74:75], v[74:75], v[92:93], -v[142:143]
	v_fma_f64 v[66:67], v[66:67], v[96:97], -v[144:145]
	v_fma_f64 v[42:43], v[42:43], v[96:97], v[98:99]
	v_fma_f64 v[50:51], v[50:51], v[92:93], v[94:95]
	v_fma_f64 v[76:77], v[76:77], v[100:101], -v[146:147]
	v_fma_f64 v[68:69], v[68:69], v[104:105], -v[148:149]
	;; [unrolled: 1-line block ×3, first 2 shown]
	v_fma_f64 v[46:47], v[46:47], v[84:85], v[128:129]
	v_fma_f64 v[54:55], v[54:55], v[88:89], v[140:141]
	v_fma_f64 v[78:79], v[78:79], v[88:89], -v[90:91]
	v_fma_f64 v[70:71], v[70:71], v[84:85], -v[86:87]
	;; [unrolled: 1-line block ×3, first 2 shown]
	v_fma_f64 v[44:45], v[44:45], v[104:105], v[106:107]
	v_fma_f64 v[52:53], v[52:53], v[100:101], v[102:103]
	;; [unrolled: 1-line block ×6, first 2 shown]
	v_fma_f64 v[62:63], v[62:63], v[124:125], -v[126:127]
	v_fma_f64 v[58:59], v[58:59], v[120:121], -v[122:123]
	v_fma_f64 v[36:37], v[36:37], v[132:133], v[158:159]
	v_fma_f64 v[32:33], v[32:33], v[136:137], v[160:161]
	v_fma_f64 v[60:61], v[60:61], v[136:137], -v[138:139]
	v_fma_f64 v[56:57], v[56:57], v[132:133], -v[134:135]
	v_add_nc_u32_e32 v136, 63, v130
	v_mul_lo_u32 v134, s3, v118
	v_mul_lo_u32 v135, s2, v119
	s_delay_alu instid0(VALU_DEP_3)
	v_lshrrev_b32_e32 v120, 2, v136
	v_add_f64_e32 v[86:87], v[66:67], v[74:75]
	v_add_f64_e32 v[90:91], v[42:43], v[50:51]
	v_add_f64_e64 v[42:43], v[42:43], -v[50:51]
	v_add_f64_e32 v[92:93], v[68:69], v[76:77]
	v_add_f64_e32 v[88:89], v[46:47], v[54:55]
	v_add_f64_e64 v[46:47], v[46:47], -v[54:55]
	;; [unrolled: 3-line block ×3, first 2 shown]
	v_add_f64_e32 v[96:97], v[44:45], v[52:53]
	v_add_f64_e64 v[44:45], v[44:45], -v[52:53]
	v_add_f64_e32 v[98:99], v[40:41], v[48:49]
	v_add_f64_e64 v[40:41], v[40:41], -v[48:49]
	v_add_f64_e64 v[100:101], v[38:39], -v[34:35]
	v_add_f64_e32 v[34:35], v[38:39], v[34:35]
	v_add_f64_e32 v[50:51], v[58:59], v[62:63]
	v_add_f64_e64 v[38:39], v[58:59], -v[62:63]
	v_add_f64_e64 v[58:59], v[66:67], -v[74:75]
	;; [unrolled: 1-line block ×3, first 2 shown]
	v_add_f64_e32 v[66:67], v[56:57], v[60:61]
	v_add_f64_e32 v[32:33], v[36:37], v[32:33]
	v_add_f64_e64 v[56:57], v[56:57], -v[60:61]
	v_add_f64_e64 v[60:61], v[64:65], -v[72:73]
	;; [unrolled: 1-line block ×3, first 2 shown]
	v_mad_co_u64_u32 v[52:53], null, s2, v118, 0
	s_mov_b32 s2, 0x37c3f68c
	s_mov_b32 s3, 0xbfdc38aa
	s_delay_alu instid0(VALU_DEP_1) | instskip(NEXT) | instid1(VALU_DEP_1)
	v_add3_u32 v53, v53, v135, v134
	v_lshlrev_b64_e32 v[52:53], 4, v[52:53]
	v_add_f64_e32 v[62:63], v[88:89], v[90:91]
	v_add_f64_e64 v[104:105], v[42:43], -v[46:47]
	v_add_f64_e32 v[48:49], v[84:85], v[86:87]
	v_add_f64_e32 v[36:37], v[92:93], v[94:95]
	;; [unrolled: 1-line block ×3, first 2 shown]
	v_add_f64_e64 v[110:111], v[40:41], -v[44:45]
	v_add_f64_e64 v[72:73], v[100:101], -v[42:43]
	;; [unrolled: 1-line block ×13, first 2 shown]
	v_add_f64_e32 v[42:43], v[100:101], v[42:43]
	v_add_f64_e64 v[100:101], v[70:71], -v[38:39]
	v_add_f64_e32 v[58:59], v[38:39], v[58:59]
	v_add_f64_e64 v[84:85], v[86:87], -v[84:85]
	v_add_f64_e32 v[86:87], v[54:55], v[40:41]
	v_add_f64_e32 v[60:61], v[56:57], v[60:61]
	v_add_f64_e64 v[54:55], v[44:45], -v[54:55]
	v_add_f64_e64 v[56:57], v[64:65], -v[56:57]
	;; [unrolled: 1-line block ×3, first 2 shown]
	v_mul_f64_e32 v[128:129], s[14:15], v[104:105]
	v_add_f64_e32 v[48:49], v[50:51], v[48:49]
	v_add_f64_e32 v[50:51], v[34:35], v[62:63]
	v_add_f64_e64 v[62:63], v[66:67], -v[94:95]
	v_add_f64_e32 v[112:113], v[66:67], v[36:37]
	v_add_f64_e64 v[66:67], v[92:93], -v[66:67]
	v_add_f64_e32 v[68:69], v[32:33], v[68:69]
	v_mul_hi_u32 v36, 0x16c16c17, v120
	v_add_f64_e64 v[120:121], v[96:97], -v[32:33]
	v_lshrrev_b32_e32 v37, 2, v130
	v_mul_f64_e32 v[72:73], s[20:21], v[72:73]
	v_mul_f64_e32 v[76:77], s[18:19], v[76:77]
	v_mul_f64_e32 v[78:79], s[18:19], v[78:79]
	v_mul_f64_e32 v[102:103], s[20:21], v[102:103]
	v_mul_hi_u32 v137, 0x16c16c17, v37
	v_lshrrev_b32_e32 v138, 2, v36
	v_mul_f64_e32 v[132:133], s[22:23], v[74:75]
	v_mul_f64_e32 v[106:107], s[20:21], v[106:107]
	v_add_f64_e64 v[92:93], v[94:95], -v[92:93]
	v_mul_f64_e32 v[94:95], s[20:21], v[114:115]
	v_add_f64_e64 v[96:97], v[98:99], -v[96:97]
	v_mul_f64_e32 v[90:91], s[22:23], v[122:123]
	v_mul_f64_e32 v[98:99], s[14:15], v[124:125]
	v_add_f64_e32 v[42:43], v[46:47], v[42:43]
	v_add_f64_e32 v[46:47], v[70:71], v[58:59]
	;; [unrolled: 1-line block ×4, first 2 shown]
	v_mul_lo_u32 v139, 0xb4, v138
	v_lshrrev_b32_e32 v114, 2, v137
	v_dual_mov_b32 v32, 0 :: v_dual_add_nc_u32 v33, 0x7e, v130
	s_delay_alu instid0(VALU_DEP_2) | instskip(NEXT) | instid1(VALU_DEP_4)
	v_mul_lo_u32 v115, 0xb4, v114
	v_sub_nc_u32_e32 v114, v136, v139
	s_delay_alu instid0(VALU_DEP_3)
	v_cmp_gt_u32_e32 vcc_lo, 0xb4, v33
	s_wait_alu 0xfffe
	v_fma_f64 v[86:87], v[126:127], s[12:13], -v[128:129]
	v_add_f64_e32 v[36:37], v[30:31], v[48:49]
	v_add_f64_e32 v[34:35], v[18:19], v[50:51]
	v_mul_f64_e32 v[18:19], s[18:19], v[62:63]
	v_mul_f64_e32 v[30:31], s[18:19], v[108:109]
	;; [unrolled: 1-line block ×3, first 2 shown]
	v_add_f64_e32 v[40:41], v[28:29], v[112:113]
	v_mul_f64_e32 v[28:29], s[22:23], v[66:67]
	v_mul_f64_e32 v[108:109], s[14:15], v[118:119]
	v_add_f64_e32 v[38:39], v[16:17], v[68:69]
	v_mul_f64_e32 v[16:17], s[22:23], v[120:121]
	v_fma_f64 v[60:61], v[126:127], s[8:9], v[72:73]
	v_fma_f64 v[64:65], v[74:75], s[22:23], v[76:77]
	;; [unrolled: 1-line block ×4, first 2 shown]
	v_fma_f64 v[76:77], v[84:85], s[24:25], -v[76:77]
	v_fma_f64 v[122:123], v[84:85], s[16:17], -v[132:133]
	;; [unrolled: 1-line block ×3, first 2 shown]
	v_fma_f64 v[84:85], v[54:55], s[8:9], v[106:107]
	v_fma_f64 v[78:79], v[88:89], s[24:25], -v[78:79]
	v_fma_f64 v[90:91], v[88:89], s[16:17], -v[90:91]
	v_fma_f64 v[48:49], v[48:49], s[6:7], v[36:37]
	v_fma_f64 v[50:51], v[50:51], s[6:7], v[34:35]
	;; [unrolled: 1-line block ×4, first 2 shown]
	v_fma_f64 v[54:55], v[54:55], s[12:13], -v[62:63]
	v_fma_f64 v[62:63], v[110:111], s[14:15], -v[106:107]
	v_fma_f64 v[106:107], v[112:113], s[6:7], v[40:41]
	v_fma_f64 v[28:29], v[92:93], s[16:17], -v[28:29]
	v_fma_f64 v[18:19], v[92:93], s[24:25], -v[18:19]
	v_fma_f64 v[92:93], v[56:57], s[8:9], v[94:95]
	;; [unrolled: 3-line block ×3, first 2 shown]
	v_fma_f64 v[108:109], v[96:97], s[16:17], -v[16:17]
	v_fma_f64 v[30:31], v[96:97], s[24:25], -v[30:31]
	;; [unrolled: 1-line block ×4, first 2 shown]
	v_mad_co_u64_u32 v[100:101], null, 0x4ec, v138, v[114:115]
	v_add_co_u32 v16, s1, s10, v52
	v_sub_nc_u32_e32 v52, v130, v115
	v_mov_b32_e32 v101, v32
	v_fma_f64 v[110:111], v[46:47], s[2:3], v[74:75]
	v_fma_f64 v[74:75], v[44:45], s[2:3], v[84:85]
	s_wait_alu 0xf1ff
	v_add_co_ci_u32_e64 v17, s1, s11, v53, s1
	v_lshlrev_b32_e32 v88, 4, v52
	v_lshlrev_b64_e32 v[52:53], 4, v[100:101]
	v_fma_f64 v[101:102], v[42:43], s[2:3], v[60:61]
	v_fma_f64 v[60:61], v[42:43], s[2:3], v[86:87]
	;; [unrolled: 1-line block ×3, first 2 shown]
	v_add_co_u32 v16, s1, v16, v116
	s_wait_alu 0xf1ff
	v_add_co_ci_u32_e64 v17, s1, v17, v117, s1
	v_add_f64_e32 v[112:113], v[64:65], v[48:49]
	v_add_f64_e32 v[64:65], v[122:123], v[48:49]
	;; [unrolled: 1-line block ×4, first 2 shown]
	v_fma_f64 v[54:55], v[44:45], s[2:3], v[54:55]
	v_fma_f64 v[62:63], v[44:45], s[2:3], v[62:63]
	v_add_f64_e32 v[66:67], v[66:67], v[106:107]
	v_add_f64_e32 v[28:29], v[28:29], v[106:107]
	v_add_f64_e32 v[18:19], v[18:19], v[106:107]
	v_fma_f64 v[92:93], v[58:59], s[2:3], v[92:93]
	v_fma_f64 v[106:107], v[58:59], s[2:3], v[56:57]
	;; [unrolled: 1-line block ×3, first 2 shown]
	v_add_f64_e32 v[94:95], v[104:105], v[68:69]
	v_add_f64_e32 v[103:104], v[108:109], v[68:69]
	;; [unrolled: 1-line block ×3, first 2 shown]
	v_fma_f64 v[96:97], v[46:47], s[2:3], v[96:97]
	v_fma_f64 v[46:47], v[46:47], s[2:3], v[98:99]
	v_add_f64_e32 v[98:99], v[90:91], v[50:51]
	v_add_f64_e32 v[50:51], v[78:79], v[50:51]
	v_add_co_u32 v78, s1, v16, v88
	v_add_nc_u32_e32 v31, 0xb4, v100
	s_wait_alu 0xf1ff
	v_add_co_ci_u32_e64 v79, s1, 0, v17, s1
	v_add_co_u32 v116, s1, v16, v52
	s_wait_alu 0xf1ff
	v_add_co_ci_u32_e64 v117, s1, v17, v53, s1
	v_lshlrev_b64_e32 v[42:43], 4, v[31:32]
	v_add_nc_u32_e32 v31, 0x168, v100
	s_delay_alu instid0(VALU_DEP_1) | instskip(SKIP_1) | instid1(VALU_DEP_4)
	v_lshlrev_b64_e32 v[118:119], 4, v[31:32]
	v_add_nc_u32_e32 v31, 0x21c, v100
	v_add_co_u32 v120, s1, v16, v42
	s_wait_alu 0xf1ff
	v_add_co_ci_u32_e64 v121, s1, v17, v43, s1
	v_add_f64_e32 v[48:49], v[60:61], v[64:65]
	v_add_f64_e64 v[60:61], v[64:65], -v[60:61]
	v_add_f64_e64 v[52:53], v[70:71], -v[72:73]
	v_add_f64_e32 v[56:57], v[72:73], v[70:71]
	v_add_f64_e64 v[90:91], v[66:67], -v[74:75]
	v_add_f64_e64 v[86:87], v[28:29], -v[54:55]
	v_add_f64_e32 v[64:65], v[74:75], v[66:67]
	v_add_f64_e32 v[76:77], v[62:63], v[18:19]
	v_add_f64_e64 v[72:73], v[18:19], -v[62:63]
	v_add_f64_e32 v[68:69], v[54:55], v[28:29]
	v_add_f64_e32 v[88:89], v[92:93], v[94:95]
	;; [unrolled: 1-line block ×3, first 2 shown]
	v_add_f64_e64 v[74:75], v[108:109], -v[58:59]
	v_add_f64_e32 v[70:71], v[58:59], v[108:109]
	v_add_f64_e64 v[66:67], v[103:104], -v[106:107]
	v_add_f64_e64 v[62:63], v[94:95], -v[92:93]
	v_add_f64_e64 v[94:95], v[112:113], -v[101:102]
	v_add_f64_e32 v[92:93], v[110:111], v[114:115]
	v_add_f64_e32 v[58:59], v[96:97], v[98:99]
	v_add_f64_e64 v[54:55], v[50:51], -v[46:47]
	v_add_f64_e32 v[50:51], v[46:47], v[50:51]
	v_add_f64_e64 v[46:47], v[98:99], -v[96:97]
	;; [unrolled: 2-line block ×3, first 2 shown]
	v_lshlrev_b64_e32 v[122:123], 4, v[31:32]
	v_add_nc_u32_e32 v31, 0x2d0, v100
	v_add_co_u32 v18, s1, v16, v118
	s_wait_alu 0xf1ff
	v_add_co_ci_u32_e64 v19, s1, v17, v119, s1
	s_delay_alu instid0(VALU_DEP_3) | instskip(SKIP_4) | instid1(VALU_DEP_3)
	v_lshlrev_b64_e32 v[28:29], 4, v[31:32]
	v_add_nc_u32_e32 v31, 0x384, v100
	v_add_co_u32 v96, s1, v16, v122
	s_wait_alu 0xf1ff
	v_add_co_ci_u32_e64 v97, s1, v17, v123, s1
	v_lshlrev_b64_e32 v[98:99], 4, v[31:32]
	v_add_nc_u32_e32 v31, 0x438, v100
	v_add_co_u32 v28, s1, v16, v28
	s_wait_alu 0xf1ff
	v_add_co_ci_u32_e64 v29, s1, v17, v29, s1
	s_delay_alu instid0(VALU_DEP_3) | instskip(SKIP_3) | instid1(VALU_DEP_3)
	v_lshlrev_b64_e32 v[30:31], 4, v[31:32]
	v_add_co_u32 v98, s1, v16, v98
	s_wait_alu 0xf1ff
	v_add_co_ci_u32_e64 v99, s1, v17, v99, s1
	v_add_co_u32 v30, s1, v16, v30
	s_wait_alu 0xf1ff
	v_add_co_ci_u32_e64 v31, s1, v17, v31, s1
	s_clause 0xd
	global_store_b128 v[78:79], v[38:41], off
	global_store_b128 v[78:79], v[88:91], off offset:2880
	global_store_b128 v[78:79], v[84:87], off offset:5760
	global_store_b128 v[78:79], v[74:77], off offset:8640
	global_store_b128 v[78:79], v[70:73], off offset:11520
	global_store_b128 v[78:79], v[66:69], off offset:14400
	global_store_b128 v[78:79], v[62:65], off offset:17280
	global_store_b128 v[116:117], v[34:37], off
	global_store_b128 v[120:121], v[92:95], off
	global_store_b128 v[18:19], v[58:61], off
	global_store_b128 v[96:97], v[54:57], off
	global_store_b128 v[28:29], v[50:53], off
	global_store_b128 v[98:99], v[46:49], off
	global_store_b128 v[30:31], v[42:45], off
	s_and_b32 exec_lo, exec_lo, vcc_lo
	s_cbranch_execz .LBB0_36
; %bb.35:
	v_subrev_nc_u32_e32 v18, 54, v130
	s_delay_alu instid0(VALU_DEP_1) | instskip(NEXT) | instid1(VALU_DEP_1)
	v_cndmask_b32_e64 v18, v18, v131, s0
	v_mul_i32_i24_e32 v31, 6, v18
	s_delay_alu instid0(VALU_DEP_1) | instskip(NEXT) | instid1(VALU_DEP_1)
	v_lshlrev_b64_e32 v[18:19], 4, v[31:32]
	v_add_co_u32 v18, vcc_lo, s4, v18
	s_wait_alu 0xfffd
	s_delay_alu instid0(VALU_DEP_2)
	v_add_co_ci_u32_e32 v19, vcc_lo, s5, v19, vcc_lo
	s_clause 0x5
	global_load_b128 v[28:31], v[18:19], off offset:2848
	global_load_b128 v[34:37], v[18:19], off offset:2864
	global_load_b128 v[38:41], v[18:19], off offset:2928
	global_load_b128 v[42:45], v[18:19], off offset:2912
	global_load_b128 v[46:49], v[18:19], off offset:2880
	global_load_b128 v[50:53], v[18:19], off offset:2896
	s_wait_loadcnt 0x5
	v_mul_f64_e32 v[18:19], v[14:15], v[30:31]
	v_mul_f64_e32 v[30:31], v[2:3], v[30:31]
	s_wait_loadcnt 0x4
	v_mul_f64_e32 v[54:55], v[20:21], v[36:37]
	v_mul_f64_e32 v[36:37], v[4:5], v[36:37]
	;; [unrolled: 3-line block ×6, first 2 shown]
	v_fma_f64 v[2:3], v[2:3], v[28:29], v[18:19]
	v_fma_f64 v[14:15], v[14:15], v[28:29], -v[30:31]
	v_fma_f64 v[4:5], v[4:5], v[34:35], v[54:55]
	v_fma_f64 v[18:19], v[20:21], v[34:35], -v[36:37]
	v_fma_f64 v[20:21], v[80:81], v[38:39], v[56:57]
	v_fma_f64 v[28:29], v[82:83], v[38:39], -v[40:41]
	v_fma_f64 v[10:11], v[10:11], v[42:43], v[58:59]
	v_fma_f64 v[26:27], v[26:27], v[42:43], -v[44:45]
	v_fma_f64 v[6:7], v[6:7], v[46:47], v[60:61]
	v_fma_f64 v[22:23], v[22:23], v[46:47], -v[48:49]
	v_fma_f64 v[8:9], v[8:9], v[50:51], v[62:63]
	v_fma_f64 v[24:25], v[24:25], v[50:51], -v[52:53]
	v_add_f64_e32 v[30:31], v[2:3], v[20:21]
	v_add_f64_e32 v[34:35], v[14:15], v[28:29]
	;; [unrolled: 1-line block ×4, first 2 shown]
	v_add_f64_e64 v[4:5], v[4:5], -v[10:11]
	v_add_f64_e64 v[10:11], v[18:19], -v[26:27]
	v_add_f64_e32 v[18:19], v[6:7], v[8:9]
	v_add_f64_e32 v[26:27], v[22:23], v[24:25]
	v_add_f64_e64 v[6:7], v[8:9], -v[6:7]
	v_add_f64_e64 v[8:9], v[24:25], -v[22:23]
	v_add_f64_e64 v[20:21], v[2:3], -v[20:21]
	v_add_f64_e64 v[14:15], v[14:15], -v[28:29]
	v_add_f64_e32 v[2:3], v[36:37], v[30:31]
	v_add_f64_e32 v[22:23], v[38:39], v[34:35]
	v_add_f64_e64 v[24:25], v[30:31], -v[18:19]
	v_add_f64_e64 v[28:29], v[34:35], -v[26:27]
	;; [unrolled: 1-line block ×6, first 2 shown]
	v_add_f64_e32 v[4:5], v[6:7], v[4:5]
	v_add_f64_e32 v[10:11], v[8:9], v[10:11]
	v_add_f64_e64 v[6:7], v[20:21], -v[6:7]
	v_add_f64_e64 v[8:9], v[14:15], -v[8:9]
	v_add_f64_e32 v[48:49], v[18:19], v[2:3]
	v_add_f64_e32 v[22:23], v[26:27], v[22:23]
	v_add_f64_e64 v[18:19], v[18:19], -v[36:37]
	v_add_f64_e64 v[26:27], v[26:27], -v[38:39]
	v_mul_f64_e32 v[24:25], s[22:23], v[24:25]
	v_mul_f64_e32 v[28:29], s[22:23], v[28:29]
	;; [unrolled: 1-line block ×6, first 2 shown]
	v_add_f64_e32 v[4:5], v[4:5], v[20:21]
	v_add_f64_e32 v[10:11], v[10:11], v[14:15]
	;; [unrolled: 1-line block ×4, first 2 shown]
	v_add_f64_e64 v[12:13], v[36:37], -v[30:31]
	v_add_f64_e64 v[30:31], v[38:39], -v[34:35]
	v_mul_f64_e32 v[34:35], s[18:19], v[18:19]
	v_mul_f64_e32 v[36:37], s[18:19], v[26:27]
	v_fma_f64 v[14:15], v[18:19], s[18:19], v[24:25]
	v_fma_f64 v[18:19], v[26:27], s[18:19], v[28:29]
	v_fma_f64 v[20:21], v[6:7], s[8:9], v[40:41]
	v_fma_f64 v[26:27], v[8:9], s[8:9], v[42:43]
	v_fma_f64 v[38:39], v[44:45], s[14:15], -v[40:41]
	v_fma_f64 v[40:41], v[46:47], s[14:15], -v[42:43]
	;; [unrolled: 1-line block ×4, first 2 shown]
	v_fma_f64 v[42:43], v[48:49], s[6:7], v[0:1]
	v_fma_f64 v[22:23], v[22:23], s[6:7], v[2:3]
	v_fma_f64 v[24:25], v[12:13], s[16:17], -v[24:25]
	v_fma_f64 v[28:29], v[30:31], s[16:17], -v[28:29]
	;; [unrolled: 1-line block ×4, first 2 shown]
	v_mov_b32_e32 v34, v32
	v_fma_f64 v[35:36], v[4:5], s[2:3], v[20:21]
	v_fma_f64 v[26:27], v[10:11], s[2:3], v[26:27]
	;; [unrolled: 1-line block ×6, first 2 shown]
	v_add_f64_e32 v[46:47], v[14:15], v[42:43]
	v_add_f64_e32 v[48:49], v[18:19], v[22:23]
	;; [unrolled: 1-line block ×6, first 2 shown]
	v_add_nc_u32_e32 v31, 0x132, v130
	v_lshlrev_b64_e32 v[4:5], 4, v[33:34]
	s_delay_alu instid0(VALU_DEP_2) | instskip(SKIP_1) | instid1(VALU_DEP_3)
	v_lshlrev_b64_e32 v[33:34], 4, v[31:32]
	v_add_nc_u32_e32 v31, 0x1e6, v130
	v_add_co_u32 v41, vcc_lo, v16, v4
	s_wait_alu 0xfffd
	s_delay_alu instid0(VALU_DEP_4) | instskip(NEXT) | instid1(VALU_DEP_3)
	v_add_co_ci_u32_e32 v42, vcc_lo, v17, v5, vcc_lo
	v_lshlrev_b64_e32 v[50:51], 4, v[31:32]
	v_add_nc_u32_e32 v31, 0x29a, v130
	v_add_co_u32 v33, vcc_lo, v16, v33
	s_wait_alu 0xfffd
	v_add_co_ci_u32_e32 v34, vcc_lo, v17, v34, vcc_lo
	v_add_f64_e32 v[4:5], v[26:27], v[46:47]
	v_add_f64_e64 v[6:7], v[48:49], -v[35:36]
	v_add_f64_e32 v[8:9], v[44:45], v[24:25]
	v_add_f64_e64 v[10:11], v[28:29], -v[39:40]
	v_add_f64_e64 v[12:13], v[18:19], -v[37:38]
	v_add_f64_e32 v[14:15], v[20:21], v[22:23]
	v_add_f64_e32 v[18:19], v[37:38], v[18:19]
	v_add_f64_e64 v[20:21], v[22:23], -v[20:21]
	v_add_f64_e64 v[22:23], v[24:25], -v[44:45]
	v_add_f64_e32 v[24:25], v[39:40], v[28:29]
	v_add_f64_e64 v[26:27], v[46:47], -v[26:27]
	v_add_f64_e32 v[28:29], v[35:36], v[48:49]
	v_lshlrev_b64_e32 v[35:36], 4, v[31:32]
	v_add_nc_u32_e32 v31, 0x34e, v130
	v_add_co_u32 v37, vcc_lo, v16, v50
	s_wait_alu 0xfffd
	v_add_co_ci_u32_e32 v38, vcc_lo, v17, v51, vcc_lo
	s_delay_alu instid0(VALU_DEP_3) | instskip(SKIP_4) | instid1(VALU_DEP_3)
	v_lshlrev_b64_e32 v[39:40], 4, v[31:32]
	v_add_nc_u32_e32 v31, 0x402, v130
	v_add_co_u32 v35, vcc_lo, v16, v35
	s_wait_alu 0xfffd
	v_add_co_ci_u32_e32 v36, vcc_lo, v17, v36, vcc_lo
	v_lshlrev_b64_e32 v[43:44], 4, v[31:32]
	v_add_nc_u32_e32 v31, 0x4b6, v130
	v_add_co_u32 v39, vcc_lo, v16, v39
	s_wait_alu 0xfffd
	v_add_co_ci_u32_e32 v40, vcc_lo, v17, v40, vcc_lo
	s_delay_alu instid0(VALU_DEP_3) | instskip(SKIP_3) | instid1(VALU_DEP_3)
	v_lshlrev_b64_e32 v[30:31], 4, v[31:32]
	v_add_co_u32 v43, vcc_lo, v16, v43
	s_wait_alu 0xfffd
	v_add_co_ci_u32_e32 v44, vcc_lo, v17, v44, vcc_lo
	v_add_co_u32 v16, vcc_lo, v16, v30
	s_wait_alu 0xfffd
	v_add_co_ci_u32_e32 v17, vcc_lo, v17, v31, vcc_lo
	s_clause 0x6
	global_store_b128 v[41:42], v[0:3], off
	global_store_b128 v[33:34], v[4:7], off
	;; [unrolled: 1-line block ×7, first 2 shown]
.LBB0_36:
	s_nop 0
	s_sendmsg sendmsg(MSG_DEALLOC_VGPRS)
	s_endpgm
	.section	.rodata,"a",@progbits
	.p2align	6, 0x0
	.amdhsa_kernel fft_rtc_back_len1260_factors_2_2_3_3_5_7_wgs_63_tpt_63_halfLds_dp_op_CI_CI_unitstride_sbrr_dirReg
		.amdhsa_group_segment_fixed_size 0
		.amdhsa_private_segment_fixed_size 0
		.amdhsa_kernarg_size 104
		.amdhsa_user_sgpr_count 2
		.amdhsa_user_sgpr_dispatch_ptr 0
		.amdhsa_user_sgpr_queue_ptr 0
		.amdhsa_user_sgpr_kernarg_segment_ptr 1
		.amdhsa_user_sgpr_dispatch_id 0
		.amdhsa_user_sgpr_private_segment_size 0
		.amdhsa_wavefront_size32 1
		.amdhsa_uses_dynamic_stack 0
		.amdhsa_enable_private_segment 0
		.amdhsa_system_sgpr_workgroup_id_x 1
		.amdhsa_system_sgpr_workgroup_id_y 0
		.amdhsa_system_sgpr_workgroup_id_z 0
		.amdhsa_system_sgpr_workgroup_info 0
		.amdhsa_system_vgpr_workitem_id 0
		.amdhsa_next_free_vgpr 207
		.amdhsa_next_free_sgpr 39
		.amdhsa_reserve_vcc 1
		.amdhsa_float_round_mode_32 0
		.amdhsa_float_round_mode_16_64 0
		.amdhsa_float_denorm_mode_32 3
		.amdhsa_float_denorm_mode_16_64 3
		.amdhsa_fp16_overflow 0
		.amdhsa_workgroup_processor_mode 1
		.amdhsa_memory_ordered 1
		.amdhsa_forward_progress 0
		.amdhsa_round_robin_scheduling 0
		.amdhsa_exception_fp_ieee_invalid_op 0
		.amdhsa_exception_fp_denorm_src 0
		.amdhsa_exception_fp_ieee_div_zero 0
		.amdhsa_exception_fp_ieee_overflow 0
		.amdhsa_exception_fp_ieee_underflow 0
		.amdhsa_exception_fp_ieee_inexact 0
		.amdhsa_exception_int_div_zero 0
	.end_amdhsa_kernel
	.text
.Lfunc_end0:
	.size	fft_rtc_back_len1260_factors_2_2_3_3_5_7_wgs_63_tpt_63_halfLds_dp_op_CI_CI_unitstride_sbrr_dirReg, .Lfunc_end0-fft_rtc_back_len1260_factors_2_2_3_3_5_7_wgs_63_tpt_63_halfLds_dp_op_CI_CI_unitstride_sbrr_dirReg
                                        ; -- End function
	.section	.AMDGPU.csdata,"",@progbits
; Kernel info:
; codeLenInByte = 15408
; NumSgprs: 41
; NumVgprs: 207
; ScratchSize: 0
; MemoryBound: 1
; FloatMode: 240
; IeeeMode: 1
; LDSByteSize: 0 bytes/workgroup (compile time only)
; SGPRBlocks: 5
; VGPRBlocks: 25
; NumSGPRsForWavesPerEU: 41
; NumVGPRsForWavesPerEU: 207
; Occupancy: 7
; WaveLimiterHint : 1
; COMPUTE_PGM_RSRC2:SCRATCH_EN: 0
; COMPUTE_PGM_RSRC2:USER_SGPR: 2
; COMPUTE_PGM_RSRC2:TRAP_HANDLER: 0
; COMPUTE_PGM_RSRC2:TGID_X_EN: 1
; COMPUTE_PGM_RSRC2:TGID_Y_EN: 0
; COMPUTE_PGM_RSRC2:TGID_Z_EN: 0
; COMPUTE_PGM_RSRC2:TIDIG_COMP_CNT: 0
	.text
	.p2alignl 7, 3214868480
	.fill 96, 4, 3214868480
	.type	__hip_cuid_eca6db97a6649c90,@object ; @__hip_cuid_eca6db97a6649c90
	.section	.bss,"aw",@nobits
	.globl	__hip_cuid_eca6db97a6649c90
__hip_cuid_eca6db97a6649c90:
	.byte	0                               ; 0x0
	.size	__hip_cuid_eca6db97a6649c90, 1

	.ident	"AMD clang version 19.0.0git (https://github.com/RadeonOpenCompute/llvm-project roc-6.4.0 25133 c7fe45cf4b819c5991fe208aaa96edf142730f1d)"
	.section	".note.GNU-stack","",@progbits
	.addrsig
	.addrsig_sym __hip_cuid_eca6db97a6649c90
	.amdgpu_metadata
---
amdhsa.kernels:
  - .args:
      - .actual_access:  read_only
        .address_space:  global
        .offset:         0
        .size:           8
        .value_kind:     global_buffer
      - .offset:         8
        .size:           8
        .value_kind:     by_value
      - .actual_access:  read_only
        .address_space:  global
        .offset:         16
        .size:           8
        .value_kind:     global_buffer
      - .actual_access:  read_only
        .address_space:  global
        .offset:         24
        .size:           8
        .value_kind:     global_buffer
      - .actual_access:  read_only
        .address_space:  global
        .offset:         32
        .size:           8
        .value_kind:     global_buffer
      - .offset:         40
        .size:           8
        .value_kind:     by_value
      - .actual_access:  read_only
        .address_space:  global
        .offset:         48
        .size:           8
        .value_kind:     global_buffer
      - .actual_access:  read_only
        .address_space:  global
        .offset:         56
        .size:           8
        .value_kind:     global_buffer
      - .offset:         64
        .size:           4
        .value_kind:     by_value
      - .actual_access:  read_only
        .address_space:  global
        .offset:         72
        .size:           8
        .value_kind:     global_buffer
      - .actual_access:  read_only
        .address_space:  global
        .offset:         80
        .size:           8
        .value_kind:     global_buffer
      - .actual_access:  read_only
        .address_space:  global
        .offset:         88
        .size:           8
        .value_kind:     global_buffer
      - .actual_access:  write_only
        .address_space:  global
        .offset:         96
        .size:           8
        .value_kind:     global_buffer
    .group_segment_fixed_size: 0
    .kernarg_segment_align: 8
    .kernarg_segment_size: 104
    .language:       OpenCL C
    .language_version:
      - 2
      - 0
    .max_flat_workgroup_size: 63
    .name:           fft_rtc_back_len1260_factors_2_2_3_3_5_7_wgs_63_tpt_63_halfLds_dp_op_CI_CI_unitstride_sbrr_dirReg
    .private_segment_fixed_size: 0
    .sgpr_count:     41
    .sgpr_spill_count: 0
    .symbol:         fft_rtc_back_len1260_factors_2_2_3_3_5_7_wgs_63_tpt_63_halfLds_dp_op_CI_CI_unitstride_sbrr_dirReg.kd
    .uniform_work_group_size: 1
    .uses_dynamic_stack: false
    .vgpr_count:     207
    .vgpr_spill_count: 0
    .wavefront_size: 32
    .workgroup_processor_mode: 1
amdhsa.target:   amdgcn-amd-amdhsa--gfx1201
amdhsa.version:
  - 1
  - 2
...

	.end_amdgpu_metadata
